;; amdgpu-corpus repo=ROCm/rocSOLVER kind=compiled arch=gfx90a opt=O3
	.text
	.amdgcn_target "amdgcn-amd-amdhsa--gfx90a"
	.amdhsa_code_object_version 6
	.section	.text._ZN9rocsolver6v33100L10reset_infoIiiiEEvPT_T0_T1_S4_,"axG",@progbits,_ZN9rocsolver6v33100L10reset_infoIiiiEEvPT_T0_T1_S4_,comdat
	.globl	_ZN9rocsolver6v33100L10reset_infoIiiiEEvPT_T0_T1_S4_ ; -- Begin function _ZN9rocsolver6v33100L10reset_infoIiiiEEvPT_T0_T1_S4_
	.p2align	8
	.type	_ZN9rocsolver6v33100L10reset_infoIiiiEEvPT_T0_T1_S4_,@function
_ZN9rocsolver6v33100L10reset_infoIiiiEEvPT_T0_T1_S4_: ; @_ZN9rocsolver6v33100L10reset_infoIiiiEEvPT_T0_T1_S4_
; %bb.0:
	s_load_dword s7, s[4:5], 0x24
	s_load_dwordx4 s[0:3], s[4:5], 0x8
	s_waitcnt lgkmcnt(0)
	s_and_b32 s3, s7, 0xffff
	s_mul_i32 s6, s6, s3
	v_add_u32_e32 v0, s6, v0
	v_cmp_gt_i32_e32 vcc, s0, v0
	s_and_saveexec_b64 s[6:7], vcc
	s_cbranch_execz .LBB0_2
; %bb.1:
	s_load_dwordx2 s[4:5], s[4:5], 0x0
	v_ashrrev_i32_e32 v1, 31, v0
	v_lshlrev_b64 v[2:3], 2, v[0:1]
	v_mul_lo_u32 v0, v0, s2
	v_add_u32_e32 v0, s1, v0
	s_waitcnt lgkmcnt(0)
	v_mov_b32_e32 v1, s5
	v_add_co_u32_e32 v2, vcc, s4, v2
	v_addc_co_u32_e32 v3, vcc, v1, v3, vcc
	global_store_dword v[2:3], v0, off
.LBB0_2:
	s_endpgm
	.section	.rodata,"a",@progbits
	.p2align	6, 0x0
	.amdhsa_kernel _ZN9rocsolver6v33100L10reset_infoIiiiEEvPT_T0_T1_S4_
		.amdhsa_group_segment_fixed_size 0
		.amdhsa_private_segment_fixed_size 0
		.amdhsa_kernarg_size 280
		.amdhsa_user_sgpr_count 6
		.amdhsa_user_sgpr_private_segment_buffer 1
		.amdhsa_user_sgpr_dispatch_ptr 0
		.amdhsa_user_sgpr_queue_ptr 0
		.amdhsa_user_sgpr_kernarg_segment_ptr 1
		.amdhsa_user_sgpr_dispatch_id 0
		.amdhsa_user_sgpr_flat_scratch_init 0
		.amdhsa_user_sgpr_kernarg_preload_length 0
		.amdhsa_user_sgpr_kernarg_preload_offset 0
		.amdhsa_user_sgpr_private_segment_size 0
		.amdhsa_uses_dynamic_stack 0
		.amdhsa_system_sgpr_private_segment_wavefront_offset 0
		.amdhsa_system_sgpr_workgroup_id_x 1
		.amdhsa_system_sgpr_workgroup_id_y 0
		.amdhsa_system_sgpr_workgroup_id_z 0
		.amdhsa_system_sgpr_workgroup_info 0
		.amdhsa_system_vgpr_workitem_id 0
		.amdhsa_next_free_vgpr 4
		.amdhsa_next_free_sgpr 8
		.amdhsa_accum_offset 4
		.amdhsa_reserve_vcc 1
		.amdhsa_reserve_flat_scratch 0
		.amdhsa_float_round_mode_32 0
		.amdhsa_float_round_mode_16_64 0
		.amdhsa_float_denorm_mode_32 3
		.amdhsa_float_denorm_mode_16_64 3
		.amdhsa_dx10_clamp 1
		.amdhsa_ieee_mode 1
		.amdhsa_fp16_overflow 0
		.amdhsa_tg_split 0
		.amdhsa_exception_fp_ieee_invalid_op 0
		.amdhsa_exception_fp_denorm_src 0
		.amdhsa_exception_fp_ieee_div_zero 0
		.amdhsa_exception_fp_ieee_overflow 0
		.amdhsa_exception_fp_ieee_underflow 0
		.amdhsa_exception_fp_ieee_inexact 0
		.amdhsa_exception_int_div_zero 0
	.end_amdhsa_kernel
	.section	.text._ZN9rocsolver6v33100L10reset_infoIiiiEEvPT_T0_T1_S4_,"axG",@progbits,_ZN9rocsolver6v33100L10reset_infoIiiiEEvPT_T0_T1_S4_,comdat
.Lfunc_end0:
	.size	_ZN9rocsolver6v33100L10reset_infoIiiiEEvPT_T0_T1_S4_, .Lfunc_end0-_ZN9rocsolver6v33100L10reset_infoIiiiEEvPT_T0_T1_S4_
                                        ; -- End function
	.section	.AMDGPU.csdata,"",@progbits
; Kernel info:
; codeLenInByte = 108
; NumSgprs: 12
; NumVgprs: 4
; NumAgprs: 0
; TotalNumVgprs: 4
; ScratchSize: 0
; MemoryBound: 0
; FloatMode: 240
; IeeeMode: 1
; LDSByteSize: 0 bytes/workgroup (compile time only)
; SGPRBlocks: 1
; VGPRBlocks: 0
; NumSGPRsForWavesPerEU: 12
; NumVGPRsForWavesPerEU: 4
; AccumOffset: 4
; Occupancy: 8
; WaveLimiterHint : 0
; COMPUTE_PGM_RSRC2:SCRATCH_EN: 0
; COMPUTE_PGM_RSRC2:USER_SGPR: 6
; COMPUTE_PGM_RSRC2:TRAP_HANDLER: 0
; COMPUTE_PGM_RSRC2:TGID_X_EN: 1
; COMPUTE_PGM_RSRC2:TGID_Y_EN: 0
; COMPUTE_PGM_RSRC2:TGID_Z_EN: 0
; COMPUTE_PGM_RSRC2:TIDIG_COMP_CNT: 0
; COMPUTE_PGM_RSRC3_GFX90A:ACCUM_OFFSET: 0
; COMPUTE_PGM_RSRC3_GFX90A:TG_SPLIT: 0
	.section	.text._ZN9rocsolver6v33100L10bdsqr_initIffEEviPT0_lS3_lPiiS2_S2_S4_S3_lS4_,"axG",@progbits,_ZN9rocsolver6v33100L10bdsqr_initIffEEviPT0_lS3_lPiiS2_S2_S4_S3_lS4_,comdat
	.globl	_ZN9rocsolver6v33100L10bdsqr_initIffEEviPT0_lS3_lPiiS2_S2_S4_S3_lS4_ ; -- Begin function _ZN9rocsolver6v33100L10bdsqr_initIffEEviPT0_lS3_lPiiS2_S2_S4_S3_lS4_
	.p2align	8
	.type	_ZN9rocsolver6v33100L10bdsqr_initIffEEviPT0_lS3_lPiiS2_S2_S4_S3_lS4_,@function
_ZN9rocsolver6v33100L10bdsqr_initIffEEviPT0_lS3_lPiiS2_S2_S4_S3_lS4_: ; @_ZN9rocsolver6v33100L10bdsqr_initIffEEviPT0_lS3_lPiiS2_S2_S4_S3_lS4_
; %bb.0:
	s_load_dword s6, s[4:5], 0x0
	s_load_dwordx8 s[8:15], s[4:5], 0x8
	s_mov_b32 s16, s7
	s_ashr_i32 s17, s7, 31
	s_waitcnt lgkmcnt(0)
	s_ashr_i32 s7, s6, 31
	s_mul_i32 s0, s16, s11
	s_mul_hi_u32 s1, s16, s10
	s_add_i32 s0, s1, s0
	s_mul_i32 s1, s17, s10
	s_add_i32 s1, s0, s1
	s_mul_i32 s0, s16, s10
	s_lshl_b64 s[0:1], s[0:1], 2
	s_add_u32 s18, s8, s0
	s_addc_u32 s19, s9, s1
	s_mul_i32 s0, s16, s15
	s_mul_hi_u32 s1, s16, s14
	s_add_i32 s0, s1, s0
	s_mul_i32 s1, s17, s14
	s_add_i32 s1, s0, s1
	s_mul_i32 s0, s16, s14
	s_lshl_b64 s[0:1], s[0:1], 2
	s_add_u32 s20, s12, s0
	s_addc_u32 s21, s13, s1
	s_lshl_b64 s[0:1], s[6:7], 2
	s_add_u32 s22, s18, s0
	s_addc_u32 s23, s19, s1
	s_add_u32 s0, s22, -4
	s_addc_u32 s1, s23, -1
	s_load_dword s8, s[0:1], 0x0
	s_load_dword s9, s[18:19], 0x0
	s_load_dwordx2 s[24:25], s[4:5], 0x28
	v_cmp_lt_i64_e64 s[2:3], s[6:7], 2
	v_cmp_gt_i64_e64 s[26:27], s[6:7], 1
	s_waitcnt lgkmcnt(0)
	v_mov_b32_e32 v0, s8
	v_mov_b32_e32 v1, s9
	v_cmp_ge_f32_e64 s[0:1], s9, v0
	v_cndmask_b32_e64 v0, v0, v1, s[0:1]
	v_and_b32_e32 v4, 0x7fffffff, v0
	s_and_b64 vcc, exec, s[2:3]
	s_cbranch_vccnz .LBB1_3
; %bb.1:
	s_add_i32 s2, s6, -2
	s_mov_b32 s3, 1
	v_mov_b32_e32 v0, v4
.LBB1_2:                                ; =>This Inner Loop Header: Depth=1
	s_and_b64 s[8:9], s[0:1], exec
	s_cselect_b32 s8, s3, s2
	s_add_i32 s7, s3, -1
	s_and_b64 s[10:11], s[0:1], exec
	s_cselect_b32 s10, s7, s2
	s_ashr_i32 s11, s10, 31
	s_lshl_b64 s[10:11], s[10:11], 2
	s_add_u32 s10, s20, s10
	s_addc_u32 s11, s21, s11
	s_load_dword s7, s[10:11], 0x0
	s_ashr_i32 s9, s8, 31
	s_lshl_b64 s[8:9], s[8:9], 2
	s_add_u32 s8, s18, s8
	s_addc_u32 s9, s19, s9
	s_waitcnt lgkmcnt(0)
	v_add_f32_e64 v1, v0, |s7|
	s_load_dword s10, s[8:9], 0x0
	v_div_scale_f32 v2, s[8:9], v1, v1, v0
	v_rcp_f32_e32 v3, v2
	v_div_scale_f32 v5, vcc, v0, v1, v0
	s_add_i32 s2, s2, -1
	v_fma_f32 v6, -v2, v3, 1.0
	v_fmac_f32_e32 v3, v6, v3
	v_mul_f32_e32 v6, v5, v3
	v_fma_f32 v7, -v2, v6, v5
	v_fmac_f32_e32 v6, v7, v3
	v_fma_f32 v2, -v2, v6, v5
	v_div_fmas_f32 v2, v2, v3, v6
	v_div_fixup_f32 v0, v2, v1, v0
	s_waitcnt lgkmcnt(0)
	v_mul_f32_e64 v0, |s10|, v0
	s_add_i32 s3, s3, 1
	v_cmp_lt_f32_e32 vcc, v0, v4
	s_cmp_lg_u32 s3, s6
	v_cndmask_b32_e32 v4, v4, v0, vcc
	s_cbranch_scc1 .LBB1_2
.LBB1_3:
	s_load_dwordx4 s[0:3], s[4:5], 0x30
	s_load_dwordx8 s[8:15], s[4:5], 0x40
	s_lshl_b32 s31, s6, 1
	s_mul_i32 s4, s31, s16
	s_ashr_i32 s5, s4, 31
	s_lshl_b64 s[4:5], s[4:5], 2
	s_waitcnt lgkmcnt(0)
	s_add_u32 s29, s8, s4
	s_addc_u32 s30, s9, s5
	s_mov_b32 s8, 0
	v_cvt_f64_i32_e32 v[0:1], s6
	s_brev_b32 s9, 8
	v_cmp_gt_f64_e32 vcc, s[8:9], v[0:1]
	v_cndmask_b32_e64 v2, 0, 1, vcc
	v_lshlrev_b32_e32 v2, 8, v2
	v_ldexp_f64 v[0:1], v[0:1], v2
	v_rsq_f64_e32 v[2:3], v[0:1]
	s_mul_i32 s3, s16, s13
	s_mul_hi_u32 s4, s16, s12
	s_add_i32 s3, s4, s3
	s_mul_i32 s4, s17, s12
	v_mul_f64 v[6:7], v[0:1], v[2:3]
	v_mul_f64 v[2:3], v[2:3], 0.5
	s_add_i32 s5, s3, s4
	s_mul_i32 s4, s16, s12
	v_fma_f64 v[8:9], -v[2:3], v[6:7], 0.5
	s_lshl_b64 s[4:5], s[4:5], 2
	v_fmac_f64_e32 v[6:7], v[6:7], v[8:9]
	s_add_u32 s4, s10, s4
	v_fma_f64 v[10:11], -v[6:7], v[6:7], v[0:1]
	v_fmac_f64_e32 v[2:3], v[2:3], v[8:9]
	s_addc_u32 s5, s11, s5
	s_add_i32 s7, s6, -1
	v_fmac_f64_e32 v[6:7], v[10:11], v[2:3]
	v_mul_f32_e32 v5, s2, v4
	v_fma_f64 v[8:9], -v[6:7], v[6:7], v[0:1]
	s_and_b64 s[2:3], vcc, exec
	v_fmac_f64_e32 v[6:7], v[8:9], v[2:3]
	s_cselect_b32 s2, 0xffffff80, 0
	v_ldexp_f64 v[2:3], v[6:7], s2
	v_mov_b32_e32 v6, 0x260
	v_cmp_class_f64_e32 vcc, v[0:1], v6
	v_cndmask_b32_e32 v1, v3, v1, vcc
	v_cndmask_b32_e32 v0, v2, v0, vcc
	v_cvt_f32_f64_e32 v1, v[0:1]
	v_div_scale_f32 v2, s[2:3], v1, v1, v5
	v_rcp_f32_e32 v3, v2
	v_mov_b32_e32 v0, 0
	s_mov_b32 s28, 0
	s_mov_b64 s[2:3], 0
	v_fma_f32 v6, -v2, v3, 1.0
	v_fmac_f32_e32 v3, v6, v3
	v_div_scale_f32 v6, vcc, v5, v1, v5
	v_mul_f32_e32 v7, v6, v3
	v_fma_f32 v8, -v2, v7, v6
	v_fmac_f32_e32 v7, v8, v3
	v_fma_f32 v2, -v2, v7, v6
	v_cvt_f32_i32_e32 v6, s0
	v_div_fmas_f32 v2, v2, v3, v7
	v_div_fixup_f32 v1, v2, v1, v5
	s_mov_b32 s8, 0
	v_mul_f32_e32 v2, s1, v6
	v_cmp_lt_f32_e32 vcc, v1, v2
	v_cndmask_b32_e32 v5, v1, v2, vcc
	v_cndmask_b32_e64 v1, 0, 1, s[26:27]
	v_cmp_ne_u32_e64 s[0:1], 1, v1
	s_andn2_b64 vcc, exec, s[26:27]
	global_store_dwordx2 v0, v[4:5], s[4:5]
	s_cbranch_vccnz .LBB1_20
; %bb.4:
	s_add_u32 s33, s29, 4
	s_mov_b32 s11, 0
	s_addc_u32 s34, s30, 0
	s_movk_i32 s35, 0x1f8
	s_mov_b32 s8, s11
	s_mov_b32 s10, s11
	s_lshl_b32 s12, s10, 2
	s_or_b32 s9, s12, 3
	s_cmp_ge_i32 s9, s31
	s_cbranch_scc1 .LBB1_6
.LBB1_5:
	s_mov_b32 s13, s11
	s_lshl_b64 s[12:13], s[12:13], 2
	s_add_u32 s12, s29, s12
	s_addc_u32 s13, s30, s13
	s_waitcnt vmcnt(0)
	v_mov_b32_e32 v1, v0
	v_mov_b32_e32 v2, v0
	;; [unrolled: 1-line block ×3, first 2 shown]
	global_store_dwordx4 v0, v[0:3], s[12:13]
	s_waitcnt vmcnt(0)
	buffer_wbinvl1_vol
.LBB1_6:                                ; =>This Inner Loop Header: Depth=1
	s_lshl_b64 s[12:13], s[10:11], 2
	s_add_u32 s26, s18, s12
	s_addc_u32 s27, s19, s13
	global_load_dword v2, v0, s[26:27]
	s_add_u32 s12, s20, s12
	s_addc_u32 s13, s21, s13
	global_load_dword v1, v0, s[12:13]
	s_waitcnt vmcnt(1)
	v_cmp_class_f32_e64 s[26:27], v2, s35
	s_and_b64 vcc, exec, s[26:27]
	s_cbranch_vccz .LBB1_19
; %bb.7:                                ;   in Loop: Header=BB1_6 Depth=1
	s_waitcnt vmcnt(0)
	v_cmp_class_f32_e64 s[26:27], v1, s35
	s_and_b64 vcc, exec, s[26:27]
	s_cbranch_vccnz .LBB1_9
; %bb.8:                                ;   in Loop: Header=BB1_6 Depth=1
	s_mov_b64 s[2:3], -1
.LBB1_9:                                ;   in Loop: Header=BB1_6 Depth=1
	v_and_b32_e32 v2, 0x7fffffff, v1
	s_cbranch_execnz .LBB1_11
.LBB1_10:                               ;   in Loop: Header=BB1_6 Depth=1
	s_waitcnt vmcnt(0)
	v_and_b32_e32 v2, 0x7fffffff, v1
	s_mov_b64 s[2:3], -1
.LBB1_11:                               ;   in Loop: Header=BB1_6 Depth=1
	v_cmp_lt_f32_e32 vcc, v2, v5
	s_mov_b64 s[26:27], -1
                                        ; implicit-def: $sgpr9
	s_cbranch_vccz .LBB1_14
; %bb.12:                               ;   in Loop: Header=BB1_6 Depth=1
	s_andn2_b64 vcc, exec, s[26:27]
	s_cbranch_vccz .LBB1_15
.LBB1_13:                               ;   in Loop: Header=BB1_6 Depth=1
	s_cmp_eq_u32 s9, s7
	s_cbranch_scc0 .LBB1_18
	s_branch .LBB1_20
.LBB1_14:                               ;   in Loop: Header=BB1_6 Depth=1
	s_add_i32 s9, s10, 1
	s_cbranch_execnz .LBB1_13
.LBB1_15:                               ;   in Loop: Header=BB1_6 Depth=1
	s_cmp_ge_i32 s8, s10
	global_store_dword v0, v0, s[12:13]
	s_cbranch_scc1 .LBB1_17
; %bb.16:                               ;   in Loop: Header=BB1_6 Depth=1
	s_lshl_b32 s12, s28, 2
	s_ashr_i32 s13, s12, 31
	s_lshl_b64 s[12:13], s[12:13], 2
	s_mov_b32 s9, s10
	s_add_u32 s12, s33, s12
	s_addc_u32 s13, s34, s13
	v_pk_mov_b32 v[2:3], s[8:9], s[8:9] op_sel:[0,1]
	s_add_i32 s28, s28, 1
	global_store_dwordx2 v0, v[2:3], s[12:13]
.LBB1_17:                               ;   in Loop: Header=BB1_6 Depth=1
	s_add_i32 s9, s10, 1
	s_mov_b32 s8, s9
	s_cmp_eq_u32 s9, s7
	s_cbranch_scc1 .LBB1_20
.LBB1_18:                               ;   in Loop: Header=BB1_6 Depth=1
	s_mov_b32 s10, s9
	s_lshl_b32 s12, s10, 2
	s_or_b32 s9, s12, 3
	s_cmp_ge_i32 s9, s31
	s_cbranch_scc0 .LBB1_5
	s_branch .LBB1_6
.LBB1_19:                               ;   in Loop: Header=BB1_6 Depth=1
                                        ; implicit-def: $sgpr2_sgpr3
                                        ; implicit-def: $vgpr2
	s_branch .LBB1_10
.LBB1_20:
	s_waitcnt vmcnt(0)
	v_mov_b32_e32 v1, 0
	global_load_dword v0, v1, s[22:23] offset:-4
	s_cmp_lt_i32 s8, s7
	s_cbranch_scc0 .LBB1_22
; %bb.21:
	s_lshl_b32 s10, s28, 2
	s_ashr_i32 s11, s10, 31
	s_lshl_b64 s[10:11], s[10:11], 2
	s_add_u32 s10, s29, s10
	s_addc_u32 s11, s30, s11
	v_mov_b32_e32 v2, s8
	v_mov_b32_e32 v3, s7
	global_store_dwordx2 v1, v[2:3], s[10:11] offset:4
.LBB1_22:
	s_mov_b32 s8, 0x7f800000
	s_waitcnt vmcnt(0)
	v_cmp_nlg_f32_e64 s[8:9], |v0|, s8
	s_or_b64 s[2:3], s[8:9], s[2:3]
	s_andn2_b64 vcc, exec, s[2:3]
	s_mov_b64 s[2:3], -1
	s_cbranch_vccz .LBB1_28
; %bb.23:
	s_add_i32 s8, s28, 1
	v_cvt_f32_i32_e32 v0, s8
	s_lshl_b64 s[2:3], s[16:17], 2
	s_add_u32 s2, s24, s2
	s_addc_u32 s3, s25, s3
	v_mov_b32_e32 v1, 0
	s_cmp_lt_i32 s28, 0
	global_store_dwordx2 v1, v[0:1], s[4:5] offset:8
	global_store_dword v1, v1, s[2:3]
	s_cbranch_scc1 .LBB1_27
; %bb.24:
	s_mov_b64 s[2:3], 0
	v_mov_b32_e32 v3, 0
.LBB1_25:                               ; =>This Inner Loop Header: Depth=1
	v_mov_b32_e32 v2, s8
	global_atomic_cmpswap v3, v1, v[2:3], s[14:15] offset:4 glc
	s_waitcnt vmcnt(0)
	v_cmp_lt_i32_e32 vcc, s28, v3
	s_or_b64 s[2:3], vcc, s[2:3]
	s_andn2_b64 exec, exec, s[2:3]
	s_cbranch_execnz .LBB1_25
; %bb.26:
	s_or_b64 exec, exec, s[2:3]
.LBB1_27:
	s_mov_b64 s[2:3], 0
.LBB1_28:
	s_andn2_b64 vcc, exec, s[2:3]
	s_cbranch_vccnz .LBB1_34
; %bb.29:
	s_and_b64 vcc, exec, s[0:1]
	s_cbranch_vccnz .LBB1_32
; %bb.30:
	v_mov_b32_e32 v0, 0
	v_mov_b32_e32 v1, 0x7fc00000
.LBB1_31:                               ; =>This Inner Loop Header: Depth=1
	s_add_i32 s7, s7, -1
	global_store_dword v0, v1, s[18:19]
	global_store_dword v0, v1, s[20:21]
	s_add_u32 s18, s18, 4
	s_addc_u32 s19, s19, 0
	s_add_u32 s20, s20, 4
	s_addc_u32 s21, s21, 0
	s_cmp_eq_u32 s7, 0
	s_cbranch_scc0 .LBB1_31
.LBB1_32:
	s_lshl_b64 s[2:3], s[16:17], 2
	s_add_u32 s4, s24, s2
	v_mov_b32_e32 v0, 0
	v_mov_b32_e32 v1, 0x7fc00000
	s_addc_u32 s5, s25, s3
	global_store_dword v0, v1, s[22:23] offset:-4
	v_mov_b32_e32 v1, s6
	s_add_u32 s2, s14, s2
	s_mov_b64 s[0:1], exec
	global_store_dword v0, v1, s[4:5]
	s_addc_u32 s3, s15, s3
	v_mov_b32_e32 v1, 2
	global_store_dword v0, v1, s[2:3] offset:8
	v_mbcnt_lo_u32_b32 v1, s0, 0
	v_mbcnt_hi_u32_b32 v1, s1, v1
	v_cmp_eq_u32_e32 vcc, 0, v1
	s_and_saveexec_b64 s[2:3], vcc
	s_cbranch_execz .LBB1_34
; %bb.33:
	s_bcnt1_i32_b64 s0, s[0:1]
	v_mov_b32_e32 v1, s0
	global_atomic_add v0, v1, s[14:15]
.LBB1_34:
	s_endpgm
	.section	.rodata,"a",@progbits
	.p2align	6, 0x0
	.amdhsa_kernel _ZN9rocsolver6v33100L10bdsqr_initIffEEviPT0_lS3_lPiiS2_S2_S4_S3_lS4_
		.amdhsa_group_segment_fixed_size 0
		.amdhsa_private_segment_fixed_size 0
		.amdhsa_kernarg_size 96
		.amdhsa_user_sgpr_count 6
		.amdhsa_user_sgpr_private_segment_buffer 1
		.amdhsa_user_sgpr_dispatch_ptr 0
		.amdhsa_user_sgpr_queue_ptr 0
		.amdhsa_user_sgpr_kernarg_segment_ptr 1
		.amdhsa_user_sgpr_dispatch_id 0
		.amdhsa_user_sgpr_flat_scratch_init 0
		.amdhsa_user_sgpr_kernarg_preload_length 0
		.amdhsa_user_sgpr_kernarg_preload_offset 0
		.amdhsa_user_sgpr_private_segment_size 0
		.amdhsa_uses_dynamic_stack 0
		.amdhsa_system_sgpr_private_segment_wavefront_offset 0
		.amdhsa_system_sgpr_workgroup_id_x 1
		.amdhsa_system_sgpr_workgroup_id_y 1
		.amdhsa_system_sgpr_workgroup_id_z 0
		.amdhsa_system_sgpr_workgroup_info 0
		.amdhsa_system_vgpr_workitem_id 0
		.amdhsa_next_free_vgpr 12
		.amdhsa_next_free_sgpr 36
		.amdhsa_accum_offset 12
		.amdhsa_reserve_vcc 1
		.amdhsa_reserve_flat_scratch 0
		.amdhsa_float_round_mode_32 0
		.amdhsa_float_round_mode_16_64 0
		.amdhsa_float_denorm_mode_32 3
		.amdhsa_float_denorm_mode_16_64 3
		.amdhsa_dx10_clamp 1
		.amdhsa_ieee_mode 1
		.amdhsa_fp16_overflow 0
		.amdhsa_tg_split 0
		.amdhsa_exception_fp_ieee_invalid_op 0
		.amdhsa_exception_fp_denorm_src 0
		.amdhsa_exception_fp_ieee_div_zero 0
		.amdhsa_exception_fp_ieee_overflow 0
		.amdhsa_exception_fp_ieee_underflow 0
		.amdhsa_exception_fp_ieee_inexact 0
		.amdhsa_exception_int_div_zero 0
	.end_amdhsa_kernel
	.section	.text._ZN9rocsolver6v33100L10bdsqr_initIffEEviPT0_lS3_lPiiS2_S2_S4_S3_lS4_,"axG",@progbits,_ZN9rocsolver6v33100L10bdsqr_initIffEEviPT0_lS3_lPiiS2_S2_S4_S3_lS4_,comdat
.Lfunc_end1:
	.size	_ZN9rocsolver6v33100L10bdsqr_initIffEEviPT0_lS3_lPiiS2_S2_S4_S3_lS4_, .Lfunc_end1-_ZN9rocsolver6v33100L10bdsqr_initIffEEviPT0_lS3_lPiiS2_S2_S4_S3_lS4_
                                        ; -- End function
	.section	.AMDGPU.csdata,"",@progbits
; Kernel info:
; codeLenInByte = 1496
; NumSgprs: 40
; NumVgprs: 12
; NumAgprs: 0
; TotalNumVgprs: 12
; ScratchSize: 0
; MemoryBound: 0
; FloatMode: 240
; IeeeMode: 1
; LDSByteSize: 0 bytes/workgroup (compile time only)
; SGPRBlocks: 4
; VGPRBlocks: 1
; NumSGPRsForWavesPerEU: 40
; NumVGPRsForWavesPerEU: 12
; AccumOffset: 12
; Occupancy: 8
; WaveLimiterHint : 0
; COMPUTE_PGM_RSRC2:SCRATCH_EN: 0
; COMPUTE_PGM_RSRC2:USER_SGPR: 6
; COMPUTE_PGM_RSRC2:TRAP_HANDLER: 0
; COMPUTE_PGM_RSRC2:TGID_X_EN: 1
; COMPUTE_PGM_RSRC2:TGID_Y_EN: 1
; COMPUTE_PGM_RSRC2:TGID_Z_EN: 0
; COMPUTE_PGM_RSRC2:TIDIG_COMP_CNT: 0
; COMPUTE_PGM_RSRC3_GFX90A:ACCUM_OFFSET: 2
; COMPUTE_PGM_RSRC3_GFX90A:TG_SPLIT: 0
	.section	.text._ZN9rocsolver6v33100L11swap_kernelIfiEEvT0_PT_S2_S4_S2_,"axG",@progbits,_ZN9rocsolver6v33100L11swap_kernelIfiEEvT0_PT_S2_S4_S2_,comdat
	.globl	_ZN9rocsolver6v33100L11swap_kernelIfiEEvT0_PT_S2_S4_S2_ ; -- Begin function _ZN9rocsolver6v33100L11swap_kernelIfiEEvT0_PT_S2_S4_S2_
	.p2align	8
	.type	_ZN9rocsolver6v33100L11swap_kernelIfiEEvT0_PT_S2_S4_S2_,@function
_ZN9rocsolver6v33100L11swap_kernelIfiEEvT0_PT_S2_S4_S2_: ; @_ZN9rocsolver6v33100L11swap_kernelIfiEEvT0_PT_S2_S4_S2_
; %bb.0:
	s_load_dword s16, s[4:5], 0x0
	s_waitcnt lgkmcnt(0)
	s_cmp_lt_i32 s16, 1
	s_cbranch_scc1 .LBB2_10
; %bb.1:
	s_load_dword s0, s[4:5], 0x28
	s_load_dword s1, s[4:5], 0x34
	s_load_dwordx2 s[2:3], s[4:5], 0x8
	s_load_dword s12, s[4:5], 0x10
	s_load_dwordx2 s[8:9], s[4:5], 0x18
	s_load_dword s10, s[4:5], 0x20
	s_waitcnt lgkmcnt(0)
	s_and_b32 s1, s1, 0xffff
	s_mul_i32 s6, s6, s1
	s_cmp_eq_u32 s12, 1
	s_mul_i32 s4, s0, s1
	s_cselect_b64 s[0:1], -1, 0
	s_cmp_eq_u32 s10, 1
	v_add_u32_e32 v0, s6, v0
	s_cselect_b64 s[6:7], -1, 0
	s_and_b64 s[14:15], s[0:1], s[6:7]
	v_cmp_gt_i32_e64 s[0:1], s16, v0
	s_mov_b64 s[6:7], -1
	s_and_b64 vcc, exec, s[14:15]
	s_cbranch_vccnz .LBB2_6
; %bb.2:
	s_and_saveexec_b64 s[6:7], s[0:1]
	s_cbranch_execz .LBB2_5
; %bb.3:
	v_mad_i64_i32 v[2:3], s[14:15], s10, v0, 0
	v_lshlrev_b64 v[2:3], 2, v[2:3]
	v_mov_b32_e32 v1, s9
	v_add_co_u32_e32 v2, vcc, s8, v2
	v_mad_i64_i32 v[4:5], s[14:15], s12, v0, 0
	v_addc_co_u32_e32 v3, vcc, v1, v3, vcc
	s_mul_hi_i32 s11, s10, s4
	s_mul_i32 s10, s10, s4
	v_lshlrev_b64 v[4:5], 2, v[4:5]
	s_mul_hi_i32 s13, s12, s4
	s_mul_i32 s12, s12, s4
	s_lshl_b64 s[10:11], s[10:11], 2
	v_mov_b32_e32 v1, s3
	v_add_co_u32_e32 v4, vcc, s2, v4
	s_lshl_b64 s[12:13], s[12:13], 2
	v_addc_co_u32_e32 v5, vcc, v1, v5, vcc
	s_mov_b64 s[14:15], 0
	v_mov_b32_e32 v1, s11
	v_mov_b32_e32 v6, s13
	;; [unrolled: 1-line block ×3, first 2 shown]
.LBB2_4:                                ; =>This Inner Loop Header: Depth=1
	global_load_dword v8, v[4:5], off
	global_load_dword v9, v[2:3], off
	v_add_u32_e32 v7, s4, v7
	v_cmp_le_i32_e32 vcc, s16, v7
	s_or_b64 s[14:15], vcc, s[14:15]
	s_waitcnt vmcnt(1)
	global_store_dword v[2:3], v8, off
	s_waitcnt vmcnt(1)
	global_store_dword v[4:5], v9, off
	v_add_co_u32_e32 v2, vcc, s10, v2
	v_addc_co_u32_e32 v3, vcc, v3, v1, vcc
	v_add_co_u32_e32 v4, vcc, s12, v4
	v_addc_co_u32_e32 v5, vcc, v5, v6, vcc
	s_andn2_b64 exec, exec, s[14:15]
	s_cbranch_execnz .LBB2_4
.LBB2_5:
	s_or_b64 exec, exec, s[6:7]
	s_mov_b64 s[6:7], 0
.LBB2_6:
	s_andn2_b64 vcc, exec, s[6:7]
	s_cbranch_vccnz .LBB2_10
; %bb.7:
	s_and_saveexec_b64 s[6:7], s[0:1]
	s_cbranch_execz .LBB2_10
; %bb.8:
	s_ashr_i32 s5, s4, 31
	v_ashrrev_i32_e32 v1, 31, v0
	s_lshl_b64 s[0:1], s[4:5], 2
	v_lshlrev_b64 v[2:3], 2, v[0:1]
	s_mov_b64 s[6:7], 0
	v_mov_b32_e32 v1, s9
	v_mov_b32_e32 v4, s3
	;; [unrolled: 1-line block ×3, first 2 shown]
.LBB2_9:                                ; =>This Inner Loop Header: Depth=1
	v_add_co_u32_e32 v6, vcc, s8, v2
	v_addc_co_u32_e32 v7, vcc, v1, v3, vcc
	v_add_co_u32_e32 v8, vcc, s2, v2
	v_addc_co_u32_e32 v9, vcc, v4, v3, vcc
	global_load_dword v10, v[8:9], off
	global_load_dword v11, v[6:7], off
	v_add_co_u32_e32 v2, vcc, s0, v2
	v_add_u32_e32 v0, s4, v0
	v_addc_co_u32_e32 v3, vcc, v3, v5, vcc
	v_cmp_le_i32_e32 vcc, s16, v0
	s_or_b64 s[6:7], vcc, s[6:7]
	s_waitcnt vmcnt(1)
	global_store_dword v[6:7], v10, off
	s_waitcnt vmcnt(1)
	global_store_dword v[8:9], v11, off
	s_andn2_b64 exec, exec, s[6:7]
	s_cbranch_execnz .LBB2_9
.LBB2_10:
	s_endpgm
	.section	.rodata,"a",@progbits
	.p2align	6, 0x0
	.amdhsa_kernel _ZN9rocsolver6v33100L11swap_kernelIfiEEvT0_PT_S2_S4_S2_
		.amdhsa_group_segment_fixed_size 0
		.amdhsa_private_segment_fixed_size 0
		.amdhsa_kernarg_size 296
		.amdhsa_user_sgpr_count 6
		.amdhsa_user_sgpr_private_segment_buffer 1
		.amdhsa_user_sgpr_dispatch_ptr 0
		.amdhsa_user_sgpr_queue_ptr 0
		.amdhsa_user_sgpr_kernarg_segment_ptr 1
		.amdhsa_user_sgpr_dispatch_id 0
		.amdhsa_user_sgpr_flat_scratch_init 0
		.amdhsa_user_sgpr_kernarg_preload_length 0
		.amdhsa_user_sgpr_kernarg_preload_offset 0
		.amdhsa_user_sgpr_private_segment_size 0
		.amdhsa_uses_dynamic_stack 0
		.amdhsa_system_sgpr_private_segment_wavefront_offset 0
		.amdhsa_system_sgpr_workgroup_id_x 1
		.amdhsa_system_sgpr_workgroup_id_y 0
		.amdhsa_system_sgpr_workgroup_id_z 0
		.amdhsa_system_sgpr_workgroup_info 0
		.amdhsa_system_vgpr_workitem_id 0
		.amdhsa_next_free_vgpr 12
		.amdhsa_next_free_sgpr 17
		.amdhsa_accum_offset 12
		.amdhsa_reserve_vcc 1
		.amdhsa_reserve_flat_scratch 0
		.amdhsa_float_round_mode_32 0
		.amdhsa_float_round_mode_16_64 0
		.amdhsa_float_denorm_mode_32 3
		.amdhsa_float_denorm_mode_16_64 3
		.amdhsa_dx10_clamp 1
		.amdhsa_ieee_mode 1
		.amdhsa_fp16_overflow 0
		.amdhsa_tg_split 0
		.amdhsa_exception_fp_ieee_invalid_op 0
		.amdhsa_exception_fp_denorm_src 0
		.amdhsa_exception_fp_ieee_div_zero 0
		.amdhsa_exception_fp_ieee_overflow 0
		.amdhsa_exception_fp_ieee_underflow 0
		.amdhsa_exception_fp_ieee_inexact 0
		.amdhsa_exception_int_div_zero 0
	.end_amdhsa_kernel
	.section	.text._ZN9rocsolver6v33100L11swap_kernelIfiEEvT0_PT_S2_S4_S2_,"axG",@progbits,_ZN9rocsolver6v33100L11swap_kernelIfiEEvT0_PT_S2_S4_S2_,comdat
.Lfunc_end2:
	.size	_ZN9rocsolver6v33100L11swap_kernelIfiEEvT0_PT_S2_S4_S2_, .Lfunc_end2-_ZN9rocsolver6v33100L11swap_kernelIfiEEvT0_PT_S2_S4_S2_
                                        ; -- End function
	.section	.AMDGPU.csdata,"",@progbits
; Kernel info:
; codeLenInByte = 460
; NumSgprs: 21
; NumVgprs: 12
; NumAgprs: 0
; TotalNumVgprs: 12
; ScratchSize: 0
; MemoryBound: 0
; FloatMode: 240
; IeeeMode: 1
; LDSByteSize: 0 bytes/workgroup (compile time only)
; SGPRBlocks: 2
; VGPRBlocks: 1
; NumSGPRsForWavesPerEU: 21
; NumVGPRsForWavesPerEU: 12
; AccumOffset: 12
; Occupancy: 8
; WaveLimiterHint : 0
; COMPUTE_PGM_RSRC2:SCRATCH_EN: 0
; COMPUTE_PGM_RSRC2:USER_SGPR: 6
; COMPUTE_PGM_RSRC2:TRAP_HANDLER: 0
; COMPUTE_PGM_RSRC2:TGID_X_EN: 1
; COMPUTE_PGM_RSRC2:TGID_Y_EN: 0
; COMPUTE_PGM_RSRC2:TGID_Z_EN: 0
; COMPUTE_PGM_RSRC2:TIDIG_COMP_CNT: 0
; COMPUTE_PGM_RSRC3_GFX90A:ACCUM_OFFSET: 2
; COMPUTE_PGM_RSRC3_GFX90A:TG_SPLIT: 0
	.section	.text._ZN9rocsolver6v33100L10rot_kernelIffiEEvT1_PT0_S2_S4_S2_T_S5_,"axG",@progbits,_ZN9rocsolver6v33100L10rot_kernelIffiEEvT1_PT0_S2_S4_S2_T_S5_,comdat
	.globl	_ZN9rocsolver6v33100L10rot_kernelIffiEEvT1_PT0_S2_S4_S2_T_S5_ ; -- Begin function _ZN9rocsolver6v33100L10rot_kernelIffiEEvT1_PT0_S2_S4_S2_T_S5_
	.p2align	8
	.type	_ZN9rocsolver6v33100L10rot_kernelIffiEEvT1_PT0_S2_S4_S2_T_S5_,@function
_ZN9rocsolver6v33100L10rot_kernelIffiEEvT1_PT0_S2_S4_S2_T_S5_: ; @_ZN9rocsolver6v33100L10rot_kernelIffiEEvT1_PT0_S2_S4_S2_T_S5_
; %bb.0:
	s_load_dword s20, s[4:5], 0x0
	s_waitcnt lgkmcnt(0)
	s_cmp_lt_i32 s20, 1
	s_cbranch_scc1 .LBB3_10
; %bb.1:
	s_load_dword s0, s[4:5], 0x3c
	s_load_dwordx4 s[8:11], s[4:5], 0x20
	s_load_dword s1, s[4:5], 0x30
	s_load_dwordx2 s[2:3], s[4:5], 0x8
	s_waitcnt lgkmcnt(0)
	s_load_dword s11, s[4:5], 0x10
	s_load_dwordx2 s[12:13], s[4:5], 0x18
	s_and_b32 s0, s0, 0xffff
	s_mul_i32 s6, s6, s0
	s_mul_i32 s4, s1, s0
	s_waitcnt lgkmcnt(0)
	s_cmp_eq_u32 s11, 1
	s_cselect_b64 s[0:1], -1, 0
	s_cmp_eq_u32 s8, 1
	v_add_u32_e32 v0, s6, v0
	s_cselect_b64 s[6:7], -1, 0
	s_and_b64 s[14:15], s[0:1], s[6:7]
	v_cmp_gt_i32_e64 s[0:1], s20, v0
	s_mov_b64 s[6:7], -1
	s_and_b64 vcc, exec, s[14:15]
	s_cbranch_vccnz .LBB3_6
; %bb.2:
	s_and_saveexec_b64 s[6:7], s[0:1]
	s_cbranch_execz .LBB3_5
; %bb.3:
	v_mad_i64_i32 v[2:3], s[14:15], s8, v0, 0
	v_lshlrev_b64 v[2:3], 2, v[2:3]
	v_mov_b32_e32 v1, s13
	v_add_co_u32_e32 v2, vcc, s12, v2
	v_mad_i64_i32 v[4:5], s[16:17], s11, v0, 0
	v_addc_co_u32_e32 v3, vcc, v1, v3, vcc
	s_mul_hi_i32 s15, s8, s4
	s_mul_i32 s14, s8, s4
	v_lshlrev_b64 v[4:5], 2, v[4:5]
	s_mul_hi_i32 s17, s11, s4
	s_mul_i32 s16, s11, s4
	s_lshl_b64 s[14:15], s[14:15], 2
	v_mov_b32_e32 v1, s3
	v_add_co_u32_e32 v4, vcc, s2, v4
	s_lshl_b64 s[16:17], s[16:17], 2
	v_addc_co_u32_e32 v5, vcc, v1, v5, vcc
	s_mov_b64 s[18:19], 0
	v_mov_b32_e32 v1, s15
	v_mov_b32_e32 v6, s17
	;; [unrolled: 1-line block ×3, first 2 shown]
.LBB3_4:                                ; =>This Inner Loop Header: Depth=1
	global_load_dword v8, v[2:3], off
	global_load_dword v9, v[4:5], off
	v_add_u32_e32 v7, s4, v7
	v_cmp_le_i32_e32 vcc, s20, v7
	s_or_b64 s[18:19], vcc, s[18:19]
	s_waitcnt vmcnt(1)
	v_mul_f32_e32 v10, s10, v8
	s_waitcnt vmcnt(0)
	v_mul_f32_e32 v11, s10, v9
	v_fma_f32 v8, v8, s9, -v11
	v_fmac_f32_e32 v10, s9, v9
	global_store_dword v[2:3], v8, off
	global_store_dword v[4:5], v10, off
	v_add_co_u32_e32 v2, vcc, s14, v2
	v_addc_co_u32_e32 v3, vcc, v3, v1, vcc
	v_add_co_u32_e32 v4, vcc, s16, v4
	v_addc_co_u32_e32 v5, vcc, v5, v6, vcc
	s_andn2_b64 exec, exec, s[18:19]
	s_cbranch_execnz .LBB3_4
.LBB3_5:
	s_or_b64 exec, exec, s[6:7]
	s_mov_b64 s[6:7], 0
.LBB3_6:
	s_andn2_b64 vcc, exec, s[6:7]
	s_cbranch_vccnz .LBB3_10
; %bb.7:
	s_and_saveexec_b64 s[6:7], s[0:1]
	s_cbranch_execz .LBB3_10
; %bb.8:
	s_ashr_i32 s5, s4, 31
	v_ashrrev_i32_e32 v1, 31, v0
	s_lshl_b64 s[0:1], s[4:5], 2
	v_lshlrev_b64 v[2:3], 2, v[0:1]
	s_mov_b64 s[6:7], 0
	v_mov_b32_e32 v1, s3
	v_mov_b32_e32 v4, s13
	;; [unrolled: 1-line block ×3, first 2 shown]
.LBB3_9:                                ; =>This Inner Loop Header: Depth=1
	v_add_co_u32_e32 v6, vcc, s2, v2
	v_addc_co_u32_e32 v7, vcc, v1, v3, vcc
	v_add_co_u32_e32 v8, vcc, s12, v2
	v_addc_co_u32_e32 v9, vcc, v4, v3, vcc
	global_load_dword v10, v[8:9], off
	global_load_dword v11, v[6:7], off
	v_add_co_u32_e32 v2, vcc, s0, v2
	v_add_u32_e32 v0, s4, v0
	v_addc_co_u32_e32 v3, vcc, v3, v5, vcc
	v_cmp_le_i32_e32 vcc, s20, v0
	s_or_b64 s[6:7], vcc, s[6:7]
	s_waitcnt vmcnt(1)
	v_mul_f32_e32 v12, s10, v10
	s_waitcnt vmcnt(0)
	v_mul_f32_e32 v13, s10, v11
	v_fma_f32 v10, v10, s9, -v13
	v_fmac_f32_e32 v12, s9, v11
	global_store_dword v[8:9], v10, off
	global_store_dword v[6:7], v12, off
	s_andn2_b64 exec, exec, s[6:7]
	s_cbranch_execnz .LBB3_9
.LBB3_10:
	s_endpgm
	.section	.rodata,"a",@progbits
	.p2align	6, 0x0
	.amdhsa_kernel _ZN9rocsolver6v33100L10rot_kernelIffiEEvT1_PT0_S2_S4_S2_T_S5_
		.amdhsa_group_segment_fixed_size 0
		.amdhsa_private_segment_fixed_size 0
		.amdhsa_kernarg_size 304
		.amdhsa_user_sgpr_count 6
		.amdhsa_user_sgpr_private_segment_buffer 1
		.amdhsa_user_sgpr_dispatch_ptr 0
		.amdhsa_user_sgpr_queue_ptr 0
		.amdhsa_user_sgpr_kernarg_segment_ptr 1
		.amdhsa_user_sgpr_dispatch_id 0
		.amdhsa_user_sgpr_flat_scratch_init 0
		.amdhsa_user_sgpr_kernarg_preload_length 0
		.amdhsa_user_sgpr_kernarg_preload_offset 0
		.amdhsa_user_sgpr_private_segment_size 0
		.amdhsa_uses_dynamic_stack 0
		.amdhsa_system_sgpr_private_segment_wavefront_offset 0
		.amdhsa_system_sgpr_workgroup_id_x 1
		.amdhsa_system_sgpr_workgroup_id_y 0
		.amdhsa_system_sgpr_workgroup_id_z 0
		.amdhsa_system_sgpr_workgroup_info 0
		.amdhsa_system_vgpr_workitem_id 0
		.amdhsa_next_free_vgpr 14
		.amdhsa_next_free_sgpr 21
		.amdhsa_accum_offset 16
		.amdhsa_reserve_vcc 1
		.amdhsa_reserve_flat_scratch 0
		.amdhsa_float_round_mode_32 0
		.amdhsa_float_round_mode_16_64 0
		.amdhsa_float_denorm_mode_32 3
		.amdhsa_float_denorm_mode_16_64 3
		.amdhsa_dx10_clamp 1
		.amdhsa_ieee_mode 1
		.amdhsa_fp16_overflow 0
		.amdhsa_tg_split 0
		.amdhsa_exception_fp_ieee_invalid_op 0
		.amdhsa_exception_fp_denorm_src 0
		.amdhsa_exception_fp_ieee_div_zero 0
		.amdhsa_exception_fp_ieee_overflow 0
		.amdhsa_exception_fp_ieee_underflow 0
		.amdhsa_exception_fp_ieee_inexact 0
		.amdhsa_exception_int_div_zero 0
	.end_amdhsa_kernel
	.section	.text._ZN9rocsolver6v33100L10rot_kernelIffiEEvT1_PT0_S2_S4_S2_T_S5_,"axG",@progbits,_ZN9rocsolver6v33100L10rot_kernelIffiEEvT1_PT0_S2_S4_S2_T_S5_,comdat
.Lfunc_end3:
	.size	_ZN9rocsolver6v33100L10rot_kernelIffiEEvT1_PT0_S2_S4_S2_T_S5_, .Lfunc_end3-_ZN9rocsolver6v33100L10rot_kernelIffiEEvT1_PT0_S2_S4_S2_T_S5_
                                        ; -- End function
	.section	.AMDGPU.csdata,"",@progbits
; Kernel info:
; codeLenInByte = 504
; NumSgprs: 25
; NumVgprs: 14
; NumAgprs: 0
; TotalNumVgprs: 14
; ScratchSize: 0
; MemoryBound: 0
; FloatMode: 240
; IeeeMode: 1
; LDSByteSize: 0 bytes/workgroup (compile time only)
; SGPRBlocks: 3
; VGPRBlocks: 1
; NumSGPRsForWavesPerEU: 25
; NumVGPRsForWavesPerEU: 14
; AccumOffset: 16
; Occupancy: 8
; WaveLimiterHint : 0
; COMPUTE_PGM_RSRC2:SCRATCH_EN: 0
; COMPUTE_PGM_RSRC2:USER_SGPR: 6
; COMPUTE_PGM_RSRC2:TRAP_HANDLER: 0
; COMPUTE_PGM_RSRC2:TGID_X_EN: 1
; COMPUTE_PGM_RSRC2:TGID_Y_EN: 0
; COMPUTE_PGM_RSRC2:TGID_Z_EN: 0
; COMPUTE_PGM_RSRC2:TIDIG_COMP_CNT: 0
; COMPUTE_PGM_RSRC3_GFX90A:ACCUM_OFFSET: 3
; COMPUTE_PGM_RSRC3_GFX90A:TG_SPLIT: 0
	.section	.text._ZN9rocsolver6v33100L11lasr_kernelIffPfiEEv13rocblas_side_14rocblas_pivot_15rocblas_direct_T2_S6_PT0_lS8_lT1_lS6_lS6_,"axG",@progbits,_ZN9rocsolver6v33100L11lasr_kernelIffPfiEEv13rocblas_side_14rocblas_pivot_15rocblas_direct_T2_S6_PT0_lS8_lT1_lS6_lS6_,comdat
	.globl	_ZN9rocsolver6v33100L11lasr_kernelIffPfiEEv13rocblas_side_14rocblas_pivot_15rocblas_direct_T2_S6_PT0_lS8_lT1_lS6_lS6_ ; -- Begin function _ZN9rocsolver6v33100L11lasr_kernelIffPfiEEv13rocblas_side_14rocblas_pivot_15rocblas_direct_T2_S6_PT0_lS8_lT1_lS6_lS6_
	.p2align	8
	.type	_ZN9rocsolver6v33100L11lasr_kernelIffPfiEEv13rocblas_side_14rocblas_pivot_15rocblas_direct_T2_S6_PT0_lS8_lT1_lS6_lS6_,@function
_ZN9rocsolver6v33100L11lasr_kernelIffPfiEEv13rocblas_side_14rocblas_pivot_15rocblas_direct_T2_S6_PT0_lS8_lT1_lS6_lS6_: ; @_ZN9rocsolver6v33100L11lasr_kernelIffPfiEEv13rocblas_side_14rocblas_pivot_15rocblas_direct_T2_S6_PT0_lS8_lT1_lS6_lS6_
; %bb.0:
	s_load_dword s33, s[4:5], 0x58
	s_waitcnt lgkmcnt(0)
	s_cmp_ge_u32 s7, s33
	s_cbranch_scc1 .LBB4_98
; %bb.1:
	s_load_dwordx4 s[0:3], s[4:5], 0x38
	s_load_dword s20, s[4:5], 0x48
	s_load_dwordx2 s[22:23], s[4:5], 0x50
	s_load_dword s26, s[4:5], 0x60
	s_load_dwordx2 s[24:25], s[4:5], 0x68
	s_load_dwordx4 s[16:19], s[4:5], 0x0
	s_load_dword s86, s[4:5], 0x10
	s_load_dwordx8 s[8:15], s[4:5], 0x18
	s_waitcnt lgkmcnt(0)
	s_ashr_i32 s21, s20, 31
	s_and_b32 s5, s25, 0xffff
	s_mul_i32 s6, s6, s5
	s_lshl_b64 s[2:3], s[2:3], 2
	v_add_u32_e32 v0, s6, v0
	s_add_u32 s6, s0, s2
	s_addc_u32 s25, s1, s3
	s_cmpk_lg_i32 s16, 0x8d
	s_cselect_b64 s[38:39], -1, 0
	s_cmpk_lg_i32 s16, 0x8e
	s_cselect_b64 s[44:45], -1, 0
	;; [unrolled: 2-line block ×6, first 2 shown]
	s_or_b64 s[28:29], s[38:39], s[42:43]
	s_or_b64 s[16:17], s[28:29], s[52:53]
	s_xor_b64 s[16:17], s[16:17], -1
	s_ashr_i32 s27, s19, 31
	s_add_i32 s62, s19, -2
	s_cmpk_lg_i32 s18, 0xac
	s_cselect_b64 s[54:55], -1, 0
	s_or_b64 s[28:29], s[28:29], s[54:55]
	s_xor_b64 s[28:29], s[28:29], -1
	s_cmp_gt_i32 s19, 1
	s_cselect_b64 s[30:31], -1, 0
	s_or_b64 s[36:37], s[38:39], s[50:51]
	s_or_b64 s[40:41], s[38:39], s[48:49]
	;; [unrolled: 1-line block ×9, first 2 shown]
	s_xor_b64 s[34:35], s[34:35], -1
	s_xor_b64 s[36:37], s[36:37], -1
	;; [unrolled: 1-line block ×5, first 2 shown]
	s_add_i32 s18, s86, -1
	s_xor_b64 s[46:47], s[46:47], -1
                                        ; implicit-def: $vgpr42 : SGPR spill to VGPR lane
	s_add_i32 s68, s86, -2
	v_writelane_b32 v42, s46, 0
	s_cmp_gt_i32 s86, 1
	v_writelane_b32 v42, s47, 1
	s_cselect_b64 s[46:47], -1, 0
	s_or_b64 s[50:51], s[44:45], s[50:51]
	s_or_b64 s[56:57], s[50:51], s[52:53]
	s_xor_b64 s[56:57], s[56:57], -1
	v_writelane_b32 v42, s56, 2
	s_or_b64 s[50:51], s[50:51], s[54:55]
	v_writelane_b32 v42, s57, 3
	s_xor_b64 s[50:51], s[50:51], -1
	s_or_b64 s[44:45], s[44:45], s[48:49]
	v_writelane_b32 v42, s50, 4
	s_or_b64 s[48:49], s[44:45], s[52:53]
	v_writelane_b32 v42, s51, 5
	s_xor_b64 s[48:49], s[48:49], -1
	v_writelane_b32 v42, s48, 6
	v_cmp_le_i32_e32 vcc, s19, v0
	v_writelane_b32 v42, s49, 7
	s_or_b64 s[48:49], s[54:55], vcc
	s_or_b64 s[44:45], s[44:45], s[48:49]
	s_xor_b64 s[44:45], s[44:45], -1
	v_writelane_b32 v42, s44, 8
	s_mul_i32 s4, s26, s5
	v_writelane_b32 v42, s45, 9
	v_mad_i64_i32 v[2:3], s[44:45], s20, v0, 0
	s_mul_hi_i32 s45, s20, s4
	s_mul_i32 s44, s20, s4
	s_mov_b32 s63, 0
	s_add_i32 s56, s19, -1
	s_lshl_b64 s[58:59], s[22:23], 2
	s_ashr_i32 s5, s4, 31
	s_lshl_b64 s[60:61], s[44:45], 2
	s_lshl_b64 s[10:11], s[10:11], 2
	;; [unrolled: 1-line block ×4, first 2 shown]
	s_add_u32 s87, s8, s44
	s_addc_u32 s88, s9, s45
	s_add_u32 s89, s12, s44
	s_addc_u32 s90, s13, s45
	s_mov_b32 s57, s63
	s_add_u32 s26, s0, s44
	s_addc_u32 s48, s1, s45
	s_add_i32 s91, s19, 1
	s_lshl_b64 s[44:45], s[56:57], 2
	s_add_u32 s49, s0, s44
	v_lshlrev_b64 v[2:3], 2, v[2:3]
	s_addc_u32 s50, s1, s45
	s_mul_i32 s44, s21, s18
	s_mul_hi_u32 s45, s20, s18
	s_mul_i32 s62, s20, s18
	v_mov_b32_e32 v1, s3
	v_add_co_u32_e32 v4, vcc, s2, v2
	s_add_i32 s45, s45, s44
	s_mov_b32 s44, s62
	v_addc_co_u32_e32 v1, vcc, v3, v1, vcc
	s_lshl_b64 s[44:45], s[44:45], 2
	s_lshl_b64 s[64:65], s[20:21], 2
	;; [unrolled: 1-line block ×3, first 2 shown]
	s_add_u32 s5, s44, s2
	v_mov_b32_e32 v2, s1
	v_add_co_u32_e32 v18, vcc, s0, v4
	s_addc_u32 s44, s45, s3
	v_addc_co_u32_e32 v19, vcc, v2, v1, vcc
	s_mov_b32 s69, s63
	s_add_u32 s51, s0, s5
	v_add_co_u32_e32 v2, vcc, 4, v18
	s_addc_u32 s52, s1, s44
	s_lshl_b64 s[44:45], s[68:69], 2
	v_addc_co_u32_e32 v3, vcc, 0, v19, vcc
	s_add_u32 s5, s8, s44
	v_mov_b32_e32 v5, s48
	v_add_co_u32_e32 v20, vcc, s26, v4
	s_addc_u32 s57, s9, s45
	v_addc_co_u32_e32 v21, vcc, v5, v1, vcc
	s_add_u32 s92, s12, s44
	s_mul_i32 s21, s21, s68
	s_mul_hi_u32 s44, s20, s68
	v_add_co_u32_e32 v22, vcc, 4, v20
	s_addc_u32 s93, s13, s45
	s_add_i32 s45, s44, s21
	s_mul_i32 s44, s20, s68
	v_addc_co_u32_e32 v23, vcc, 0, v21, vcc
	s_lshl_b64 s[44:45], s[44:45], 2
	v_mov_b32_e32 v5, s50
	v_add_co_u32_e32 v24, vcc, s49, v4
	s_add_u32 s21, s44, s2
	v_addc_co_u32_e32 v25, vcc, v5, v1, vcc
	v_ashrrev_i32_e32 v1, 31, v0
	s_addc_u32 s44, s45, s3
	v_lshlrev_b64 v[4:5], 2, v[0:1]
	s_add_u32 s21, s0, s21
	v_mov_b32_e32 v6, s25
	v_add_co_u32_e32 v1, vcc, s6, v4
	s_addc_u32 s44, s1, s44
	v_addc_co_u32_e32 v26, vcc, v6, v5, vcc
	s_add_u32 s2, s2, s64
	v_mov_b32_e32 v6, s52
	v_add_co_u32_e32 v27, vcc, s51, v4
	s_addc_u32 s3, s3, s65
	v_addc_co_u32_e32 v28, vcc, v6, v5, vcc
	;; [unrolled: 5-line block ×3, first 2 shown]
	s_add_i32 s21, s86, 1
	v_mov_b32_e32 v6, s1
	v_add_co_u32_e32 v31, vcc, s2, v4
	s_sub_u32 s94, 0, s64
	v_addc_co_u32_e32 v32, vcc, v6, v5, vcc
	s_mov_b32 s26, s19
	s_mul_hi_i32 s63, s20, s18
	s_subb_u32 s95, 0, s65
	v_mov_b32_e32 v33, 0
	v_mov_b32_e32 v34, s61
	v_cmp_gt_i32_e64 s[0:1], s86, v0
	v_cmp_gt_i32_e64 s[2:3], s19, v0
	s_branch .LBB4_4
.LBB4_2:                                ;   in Loop: Header=BB4_4 Depth=1
	s_or_b64 exec, exec, s[68:69]
.LBB4_3:                                ;   in Loop: Header=BB4_4 Depth=1
	s_add_i32 s7, s7, s24
	s_cmp_ge_u32 s7, s33
	s_cbranch_scc1 .LBB4_98
.LBB4_4:                                ; =>This Loop Header: Depth=1
                                        ;     Child Loop BB4_8 Depth 2
                                        ;       Child Loop BB4_9 Depth 3
                                        ;     Child Loop BB4_16 Depth 2
                                        ;       Child Loop BB4_17 Depth 3
	;; [unrolled: 2-line block ×12, first 2 shown]
	s_mul_i32 s44, s11, s7
	s_mul_hi_u32 s45, s10, s7
	s_add_i32 s84, s45, s44
	s_mul_i32 s44, s15, s7
	s_mul_hi_u32 s45, s14, s7
	s_mul_i32 s85, s10, s7
	s_add_i32 s50, s45, s44
	s_add_u32 s68, s8, s85
	v_mov_b32_e32 v4, s7
	s_mul_i32 s51, s14, s7
	s_addc_u32 s69, s9, s84
	v_mad_u64_u32 v[4:5], s[44:45], s58, v4, v[2:3]
	s_add_u32 s70, s12, s51
	s_mul_i32 s44, s7, s23
	s_mul_hi_u32 s45, s7, s22
	s_addc_u32 s71, s13, s50
	s_add_i32 s45, s45, s44
	s_mul_i32 s44, s7, s22
	s_lshl_b64 s[44:45], s[44:45], 2
	s_mul_i32 s52, s59, s7
	s_add_u32 s54, s6, s44
	v_add_u32_e32 v5, s52, v5
	s_addc_u32 s55, s25, s45
	s_andn2_b64 vcc, exec, s[16:17]
	s_mov_b64 s[72:73], -1
	s_cbranch_vccnz .LBB4_11
; %bb.5:                                ;   in Loop: Header=BB4_4 Depth=1
	s_and_saveexec_b64 s[72:73], s[0:1]
	s_cbranch_execz .LBB4_10
; %bb.6:                                ;   in Loop: Header=BB4_4 Depth=1
	s_lshl_b64 s[44:45], s[26:27], 2
	s_add_u32 s44, s54, s44
	s_addc_u32 s45, s55, s45
	s_add_u32 s48, s44, -4
	s_addc_u32 s44, s45, -1
	s_mov_b64 s[74:75], 0
	v_mov_b32_e32 v12, s55
	v_mov_b32_e32 v13, s44
	v_pk_mov_b32 v[6:7], v[4:5], v[4:5] op_sel:[0,1]
	v_mov_b32_e32 v14, v0
	s_branch .LBB4_8
.LBB4_7:                                ;   in Loop: Header=BB4_8 Depth=2
	v_add_co_u32_e32 v8, vcc, s48, v8
	v_addc_co_u32_e32 v9, vcc, v13, v9, vcc
	v_add_u32_e32 v14, s4, v14
	v_cmp_le_i32_e32 vcc, s86, v14
	s_or_b64 s[74:75], vcc, s[74:75]
	v_add_co_u32_e32 v6, vcc, s60, v6
	v_addc_co_u32_e32 v7, vcc, v7, v34, vcc
	s_waitcnt vmcnt(0)
	global_store_dword v[8:9], v15, off
	s_andn2_b64 exec, exec, s[74:75]
	s_cbranch_execz .LBB4_10
.LBB4_8:                                ;   Parent Loop BB4_4 Depth=1
                                        ; =>  This Loop Header: Depth=2
                                        ;       Child Loop BB4_9 Depth 3
	v_mad_i64_i32 v[8:9], s[44:45], v14, s20, 0
	v_lshlrev_b64 v[8:9], 2, v[8:9]
	v_add_co_u32_e32 v10, vcc, s54, v8
	v_addc_co_u32_e32 v11, vcc, v12, v9, vcc
	global_load_dword v15, v[10:11], off
	s_andn2_b64 vcc, exec, s[30:31]
	s_mov_b64 s[76:77], s[70:71]
	s_mov_b64 s[78:79], s[68:69]
	v_pk_mov_b32 v[10:11], v[6:7], v[6:7] op_sel:[0,1]
	s_mov_b32 s44, s56
	s_cbranch_vccnz .LBB4_7
.LBB4_9:                                ;   Parent Loop BB4_4 Depth=1
                                        ;     Parent Loop BB4_8 Depth=2
                                        ; =>    This Inner Loop Header: Depth=3
	global_load_dword v16, v33, s[76:77]
	global_load_dword v17, v[10:11], off
	global_load_dword v35, v33, s[78:79]
	s_add_i32 s44, s44, -1
	s_add_u32 s78, s78, 4
	s_addc_u32 s79, s79, 0
	s_add_u32 s76, s76, 4
	s_addc_u32 s77, s77, 0
	s_cmp_eq_u32 s44, 0
	s_waitcnt vmcnt(1)
	v_mul_f32_e32 v36, v16, v17
	s_waitcnt vmcnt(0)
	v_fmac_f32_e32 v36, v15, v35
	v_mul_f32_e32 v16, v15, v16
	global_store_dword v[10:11], v36, off offset:-4
	v_add_co_u32_e32 v10, vcc, 4, v10
	v_fma_f32 v15, v35, v17, -v16
	v_addc_co_u32_e32 v11, vcc, 0, v11, vcc
	s_cbranch_scc0 .LBB4_9
	s_branch .LBB4_7
.LBB4_10:                               ;   in Loop: Header=BB4_4 Depth=1
	s_or_b64 exec, exec, s[72:73]
	s_mov_b64 s[72:73], 0
.LBB4_11:                               ;   in Loop: Header=BB4_4 Depth=1
	s_andn2_b64 vcc, exec, s[72:73]
	s_cbranch_vccnz .LBB4_3
; %bb.12:                               ;   in Loop: Header=BB4_4 Depth=1
	s_mul_hi_u32 s44, s58, s7
	s_add_i32 s52, s44, s52
	s_add_u32 s72, s87, s85
	s_addc_u32 s73, s88, s84
	s_add_u32 s74, s89, s51
	s_mul_i32 s53, s58, s7
	s_addc_u32 s75, s90, s50
	s_andn2_b64 vcc, exec, s[28:29]
	s_mov_b64 s[76:77], -1
	s_cbranch_vccnz .LBB4_19
; %bb.13:                               ;   in Loop: Header=BB4_4 Depth=1
	s_and_saveexec_b64 s[76:77], s[0:1]
	s_cbranch_execz .LBB4_18
; %bb.14:                               ;   in Loop: Header=BB4_4 Depth=1
	s_lshl_b64 s[44:45], s[26:27], 2
	s_add_u32 s44, s54, s44
	s_addc_u32 s45, s55, s45
	s_add_u32 s48, s44, -4
	v_mov_b32_e32 v7, s52
	v_add_co_u32_e32 v6, vcc, s53, v22
	s_addc_u32 s44, s45, -1
	v_addc_co_u32_e32 v7, vcc, v23, v7, vcc
	s_mov_b64 s[78:79], 0
	v_mov_b32_e32 v12, s44
	v_mov_b32_e32 v13, v0
	s_branch .LBB4_16
.LBB4_15:                               ;   in Loop: Header=BB4_16 Depth=2
	v_mov_b32_e32 v10, s55
	v_add_co_u32_e32 v8, vcc, s54, v8
	v_addc_co_u32_e32 v9, vcc, v10, v9, vcc
	v_add_u32_e32 v13, s4, v13
	v_cmp_le_i32_e32 vcc, s86, v13
	s_waitcnt vmcnt(0)
	global_store_dword v[8:9], v14, off
	v_mov_b32_e32 v8, s61
	s_or_b64 s[78:79], vcc, s[78:79]
	v_add_co_u32_e32 v6, vcc, s60, v6
	v_addc_co_u32_e32 v7, vcc, v7, v8, vcc
	s_andn2_b64 exec, exec, s[78:79]
	s_cbranch_execz .LBB4_18
.LBB4_16:                               ;   Parent Loop BB4_4 Depth=1
                                        ; =>  This Loop Header: Depth=2
                                        ;       Child Loop BB4_17 Depth 3
	v_mad_i64_i32 v[8:9], s[44:45], v13, s20, 0
	v_lshlrev_b64 v[8:9], 2, v[8:9]
	v_add_co_u32_e32 v10, vcc, s48, v8
	v_addc_co_u32_e32 v11, vcc, v12, v9, vcc
	global_load_dword v14, v[10:11], off
	s_andn2_b64 vcc, exec, s[30:31]
	v_pk_mov_b32 v[10:11], v[6:7], v[6:7] op_sel:[0,1]
	s_mov_b64 s[80:81], s[74:75]
	s_mov_b64 s[82:83], s[72:73]
	s_mov_b32 s49, s56
	s_cbranch_vccnz .LBB4_15
.LBB4_17:                               ;   Parent Loop BB4_4 Depth=1
                                        ;     Parent Loop BB4_16 Depth=2
                                        ; =>    This Inner Loop Header: Depth=3
	global_load_dword v15, v33, s[80:81]
	global_load_dword v35, v[10:11], off offset:-4
	global_load_dword v36, v33, s[82:83]
	s_add_i32 s49, s49, -1
	s_add_u32 s82, s82, -4
	s_addc_u32 s83, s83, -1
	v_add_co_u32_e32 v16, vcc, -4, v10
	s_waitcnt vmcnt(3)
	v_mov_b32_e32 v37, v14
	s_add_u32 s80, s80, -4
	v_addc_co_u32_e32 v17, vcc, -1, v11, vcc
	s_addc_u32 s81, s81, -1
	s_cmp_eq_u32 s49, 0
	s_waitcnt vmcnt(1)
	v_mul_f32_e32 v38, v15, v35
	s_waitcnt vmcnt(0)
	v_mul_f32_e32 v14, v36, v35
	v_fma_f32 v35, v37, v36, -v38
	v_fmac_f32_e32 v14, v37, v15
	global_store_dword v[10:11], v35, off
	v_pk_mov_b32 v[10:11], v[16:17], v[16:17] op_sel:[0,1]
	s_cbranch_scc0 .LBB4_17
	s_branch .LBB4_15
.LBB4_18:                               ;   in Loop: Header=BB4_4 Depth=1
	s_or_b64 exec, exec, s[76:77]
	s_mov_b64 s[76:77], 0
.LBB4_19:                               ;   in Loop: Header=BB4_4 Depth=1
	s_andn2_b64 vcc, exec, s[76:77]
	s_cbranch_vccnz .LBB4_3
; %bb.20:                               ;   in Loop: Header=BB4_4 Depth=1
	s_andn2_b64 vcc, exec, s[34:35]
	s_mov_b64 s[76:77], -1
	s_cbranch_vccnz .LBB4_27
; %bb.21:                               ;   in Loop: Header=BB4_4 Depth=1
	s_and_saveexec_b64 s[76:77], s[0:1]
	s_cbranch_execz .LBB4_26
; %bb.22:                               ;   in Loop: Header=BB4_4 Depth=1
	s_mov_b64 s[78:79], 0
	v_mov_b32_e32 v10, v0
	s_branch .LBB4_24
.LBB4_23:                               ;   in Loop: Header=BB4_24 Depth=2
	v_add_u32_e32 v10, s4, v10
	v_cmp_le_i32_e32 vcc, s86, v10
	s_waitcnt vmcnt(0)
	global_store_dword v[6:7], v11, off
	v_mov_b32_e32 v6, s61
	s_or_b64 s[78:79], vcc, s[78:79]
	v_add_co_u32_e32 v4, vcc, s60, v4
	v_addc_co_u32_e32 v5, vcc, v5, v6, vcc
	s_andn2_b64 exec, exec, s[78:79]
	s_cbranch_execz .LBB4_26
.LBB4_24:                               ;   Parent Loop BB4_4 Depth=1
                                        ; =>  This Loop Header: Depth=2
                                        ;       Child Loop BB4_25 Depth 3
	v_mad_i64_i32 v[6:7], s[44:45], v10, s20, 0
	v_lshlrev_b64 v[6:7], 2, v[6:7]
	v_mov_b32_e32 v8, s55
	v_add_co_u32_e32 v6, vcc, s54, v6
	v_addc_co_u32_e32 v7, vcc, v8, v7, vcc
	global_load_dword v11, v[6:7], off
	s_andn2_b64 vcc, exec, s[30:31]
	v_pk_mov_b32 v[8:9], v[4:5], v[4:5] op_sel:[0,1]
	s_mov_b32 s48, s56
	s_mov_b64 s[80:81], s[68:69]
	s_mov_b64 s[82:83], s[70:71]
	s_cbranch_vccnz .LBB4_23
.LBB4_25:                               ;   Parent Loop BB4_4 Depth=1
                                        ;     Parent Loop BB4_24 Depth=2
                                        ; =>    This Inner Loop Header: Depth=3
	global_load_dword v12, v33, s[82:83]
	global_load_dword v13, v[8:9], off
	global_load_dword v14, v33, s[80:81]
	s_waitcnt vmcnt(3)
	v_mov_b32_e32 v15, v11
	s_add_u32 s82, s82, 4
	s_addc_u32 s83, s83, 0
	s_add_u32 s80, s80, 4
	s_addc_u32 s81, s81, 0
	s_add_i32 s48, s48, -1
	s_cmp_eq_u32 s48, 0
	s_waitcnt vmcnt(2)
	v_mul_f32_e32 v16, v15, v12
	s_waitcnt vmcnt(1)
	v_mul_f32_e32 v11, v12, v13
	s_waitcnt vmcnt(0)
	v_fma_f32 v12, v14, v13, -v16
	global_store_dword v[8:9], v12, off
	v_add_co_u32_e32 v8, vcc, 4, v8
	v_fmac_f32_e32 v11, v15, v14
	v_addc_co_u32_e32 v9, vcc, 0, v9, vcc
	s_cbranch_scc0 .LBB4_25
	s_branch .LBB4_23
.LBB4_26:                               ;   in Loop: Header=BB4_4 Depth=1
	s_or_b64 exec, exec, s[76:77]
	s_mov_b64 s[76:77], 0
.LBB4_27:                               ;   in Loop: Header=BB4_4 Depth=1
	s_andn2_b64 vcc, exec, s[76:77]
	s_cbranch_vccnz .LBB4_3
; %bb.28:                               ;   in Loop: Header=BB4_4 Depth=1
	s_andn2_b64 vcc, exec, s[36:37]
	s_mov_b64 s[76:77], -1
	s_cbranch_vccnz .LBB4_35
; %bb.29:                               ;   in Loop: Header=BB4_4 Depth=1
	s_and_saveexec_b64 s[76:77], s[0:1]
	s_cbranch_execz .LBB4_34
; %bb.30:                               ;   in Loop: Header=BB4_4 Depth=1
	v_mov_b32_e32 v5, s52
	v_add_co_u32_e32 v4, vcc, s53, v24
	v_addc_co_u32_e32 v5, vcc, v25, v5, vcc
	s_mov_b64 s[78:79], 0
	v_mov_b32_e32 v10, v0
	s_branch .LBB4_32
.LBB4_31:                               ;   in Loop: Header=BB4_32 Depth=2
	v_add_u32_e32 v10, s4, v10
	v_cmp_le_i32_e32 vcc, s86, v10
	s_waitcnt vmcnt(0)
	global_store_dword v[6:7], v11, off
	v_mov_b32_e32 v6, s61
	s_or_b64 s[78:79], vcc, s[78:79]
	v_add_co_u32_e32 v4, vcc, s60, v4
	v_addc_co_u32_e32 v5, vcc, v5, v6, vcc
	s_andn2_b64 exec, exec, s[78:79]
	s_cbranch_execz .LBB4_34
.LBB4_32:                               ;   Parent Loop BB4_4 Depth=1
                                        ; =>  This Loop Header: Depth=2
                                        ;       Child Loop BB4_33 Depth 3
	v_mad_i64_i32 v[6:7], s[44:45], v10, s20, 0
	v_lshlrev_b64 v[6:7], 2, v[6:7]
	v_mov_b32_e32 v8, s55
	v_add_co_u32_e32 v6, vcc, s54, v6
	v_addc_co_u32_e32 v7, vcc, v8, v7, vcc
	global_load_dword v11, v[6:7], off
	s_andn2_b64 vcc, exec, s[30:31]
	v_pk_mov_b32 v[8:9], v[4:5], v[4:5] op_sel:[0,1]
	s_mov_b64 s[80:81], s[74:75]
	s_mov_b64 s[82:83], s[72:73]
	s_mov_b32 s44, s91
	s_cbranch_vccnz .LBB4_31
.LBB4_33:                               ;   Parent Loop BB4_4 Depth=1
                                        ;     Parent Loop BB4_32 Depth=2
                                        ; =>    This Inner Loop Header: Depth=3
	global_load_dword v12, v33, s[80:81]
	global_load_dword v13, v[8:9], off
	global_load_dword v14, v33, s[82:83]
	s_add_i32 s44, s44, -1
	s_waitcnt vmcnt(3)
	v_mov_b32_e32 v15, v11
	s_add_u32 s82, s82, -4
	s_addc_u32 s83, s83, -1
	s_add_u32 s80, s80, -4
	s_addc_u32 s81, s81, -1
	s_cmp_lt_u32 s44, 3
	s_waitcnt vmcnt(2)
	v_mul_f32_e32 v16, v15, v12
	s_waitcnt vmcnt(1)
	v_mul_f32_e32 v11, v12, v13
	s_waitcnt vmcnt(0)
	v_fma_f32 v12, v14, v13, -v16
	global_store_dword v[8:9], v12, off
	v_add_co_u32_e32 v8, vcc, -4, v8
	v_fmac_f32_e32 v11, v15, v14
	v_addc_co_u32_e32 v9, vcc, -1, v9, vcc
	s_cbranch_scc0 .LBB4_33
	s_branch .LBB4_31
.LBB4_34:                               ;   in Loop: Header=BB4_4 Depth=1
	s_or_b64 exec, exec, s[76:77]
	s_mov_b64 s[76:77], 0
.LBB4_35:                               ;   in Loop: Header=BB4_4 Depth=1
	s_andn2_b64 vcc, exec, s[76:77]
	s_cbranch_vccnz .LBB4_3
; %bb.36:                               ;   in Loop: Header=BB4_4 Depth=1
	s_andn2_b64 vcc, exec, s[38:39]
	s_mov_b64 s[76:77], -1
	s_cbranch_vccnz .LBB4_43
; %bb.37:                               ;   in Loop: Header=BB4_4 Depth=1
	s_and_saveexec_b64 s[76:77], s[0:1]
	s_cbranch_execz .LBB4_42
; %bb.38:                               ;   in Loop: Header=BB4_4 Depth=1
	s_lshl_b64 s[44:45], s[26:27], 2
	s_add_u32 s44, s54, s44
	s_addc_u32 s45, s55, s45
	v_mov_b32_e32 v5, s52
	v_add_co_u32_e32 v4, vcc, s53, v18
	s_add_u32 s48, s44, -4
	v_addc_co_u32_e32 v5, vcc, v19, v5, vcc
	s_addc_u32 s49, s45, -1
	s_mov_b64 s[78:79], 0
	v_mov_b32_e32 v10, v0
	s_branch .LBB4_40
.LBB4_39:                               ;   in Loop: Header=BB4_40 Depth=2
	v_add_u32_e32 v10, s4, v10
	v_cmp_le_i32_e32 vcc, s86, v10
	s_waitcnt vmcnt(0)
	global_store_dword v[6:7], v11, off
	v_mov_b32_e32 v6, s61
	s_or_b64 s[78:79], vcc, s[78:79]
	v_add_co_u32_e32 v4, vcc, s60, v4
	v_addc_co_u32_e32 v5, vcc, v5, v6, vcc
	s_andn2_b64 exec, exec, s[78:79]
	s_cbranch_execz .LBB4_42
.LBB4_40:                               ;   Parent Loop BB4_4 Depth=1
                                        ; =>  This Loop Header: Depth=2
                                        ;       Child Loop BB4_41 Depth 3
	v_mad_i64_i32 v[6:7], s[44:45], v10, s20, 0
	v_lshlrev_b64 v[6:7], 2, v[6:7]
	v_mov_b32_e32 v8, s49
	v_add_co_u32_e32 v6, vcc, s48, v6
	v_addc_co_u32_e32 v7, vcc, v8, v7, vcc
	global_load_dword v11, v[6:7], off
	s_andn2_b64 vcc, exec, s[30:31]
	v_pk_mov_b32 v[8:9], v[4:5], v[4:5] op_sel:[0,1]
	s_mov_b64 s[80:81], s[70:71]
	s_mov_b64 s[82:83], s[68:69]
	s_mov_b32 s44, s56
	s_cbranch_vccnz .LBB4_39
.LBB4_41:                               ;   Parent Loop BB4_4 Depth=1
                                        ;     Parent Loop BB4_40 Depth=2
                                        ; =>    This Inner Loop Header: Depth=3
	global_load_dword v12, v[8:9], off
	global_load_dword v13, v33, s[82:83]
	global_load_dword v14, v33, s[80:81]
	s_add_i32 s44, s44, -1
	s_add_u32 s82, s82, 4
	s_addc_u32 s83, s83, 0
	s_add_u32 s80, s80, 4
	s_addc_u32 s81, s81, 0
	s_cmp_eq_u32 s44, 0
	s_waitcnt vmcnt(1)
	v_mul_f32_e32 v15, v13, v12
	s_waitcnt vmcnt(0)
	v_fmac_f32_e32 v15, v11, v14
	v_mul_f32_e32 v12, v14, v12
	global_store_dword v[8:9], v15, off
	v_add_co_u32_e32 v8, vcc, 4, v8
	v_fma_f32 v11, v11, v13, -v12
	v_addc_co_u32_e32 v9, vcc, 0, v9, vcc
	s_cbranch_scc0 .LBB4_41
	s_branch .LBB4_39
.LBB4_42:                               ;   in Loop: Header=BB4_4 Depth=1
	s_or_b64 exec, exec, s[76:77]
	s_mov_b64 s[76:77], 0
.LBB4_43:                               ;   in Loop: Header=BB4_4 Depth=1
	s_andn2_b64 vcc, exec, s[76:77]
	s_cbranch_vccnz .LBB4_3
; %bb.44:                               ;   in Loop: Header=BB4_4 Depth=1
	s_andn2_b64 vcc, exec, s[40:41]
	s_mov_b64 s[76:77], -1
	s_cbranch_vccnz .LBB4_51
; %bb.45:                               ;   in Loop: Header=BB4_4 Depth=1
	s_and_saveexec_b64 s[76:77], s[0:1]
	s_cbranch_execz .LBB4_50
; %bb.46:                               ;   in Loop: Header=BB4_4 Depth=1
	s_lshl_b64 s[44:45], s[26:27], 2
	s_add_u32 s44, s54, s44
	s_addc_u32 s45, s55, s45
	v_mov_b32_e32 v5, s52
	v_add_co_u32_e32 v4, vcc, s53, v20
	s_add_u32 s48, s44, -4
	v_addc_co_u32_e32 v5, vcc, v21, v5, vcc
	s_addc_u32 s49, s45, -1
	s_mov_b64 s[78:79], 0
	v_mov_b32_e32 v10, v0
	s_branch .LBB4_48
.LBB4_47:                               ;   in Loop: Header=BB4_48 Depth=2
	v_add_u32_e32 v10, s4, v10
	v_cmp_le_i32_e32 vcc, s86, v10
	s_waitcnt vmcnt(0)
	global_store_dword v[6:7], v11, off
	v_mov_b32_e32 v6, s61
	s_or_b64 s[78:79], vcc, s[78:79]
	v_add_co_u32_e32 v4, vcc, s60, v4
	v_addc_co_u32_e32 v5, vcc, v5, v6, vcc
	s_andn2_b64 exec, exec, s[78:79]
	s_cbranch_execz .LBB4_50
.LBB4_48:                               ;   Parent Loop BB4_4 Depth=1
                                        ; =>  This Loop Header: Depth=2
                                        ;       Child Loop BB4_49 Depth 3
	v_mad_i64_i32 v[6:7], s[44:45], v10, s20, 0
	v_lshlrev_b64 v[6:7], 2, v[6:7]
	v_mov_b32_e32 v8, s49
	v_add_co_u32_e32 v6, vcc, s48, v6
	v_addc_co_u32_e32 v7, vcc, v8, v7, vcc
	global_load_dword v11, v[6:7], off
	s_andn2_b64 vcc, exec, s[30:31]
	v_pk_mov_b32 v[8:9], v[4:5], v[4:5] op_sel:[0,1]
	s_mov_b64 s[80:81], s[74:75]
	s_mov_b64 s[82:83], s[72:73]
	s_mov_b32 s44, s56
	s_cbranch_vccnz .LBB4_47
.LBB4_49:                               ;   Parent Loop BB4_4 Depth=1
                                        ;     Parent Loop BB4_48 Depth=2
                                        ; =>    This Inner Loop Header: Depth=3
	global_load_dword v12, v[8:9], off
	global_load_dword v13, v33, s[82:83]
	global_load_dword v14, v33, s[80:81]
	s_add_i32 s44, s44, -1
	s_add_u32 s82, s82, -4
	s_addc_u32 s83, s83, -1
	s_add_u32 s80, s80, -4
	s_addc_u32 s81, s81, -1
	s_cmp_eq_u32 s44, 0
	s_waitcnt vmcnt(1)
	v_mul_f32_e32 v15, v13, v12
	s_waitcnt vmcnt(0)
	v_fmac_f32_e32 v15, v11, v14
	v_mul_f32_e32 v12, v14, v12
	global_store_dword v[8:9], v15, off
	v_add_co_u32_e32 v8, vcc, -4, v8
	v_fma_f32 v11, v11, v13, -v12
	v_addc_co_u32_e32 v9, vcc, -1, v9, vcc
	s_cbranch_scc0 .LBB4_49
	s_branch .LBB4_47
.LBB4_50:                               ;   in Loop: Header=BB4_4 Depth=1
	s_or_b64 exec, exec, s[76:77]
	s_mov_b64 s[76:77], 0
.LBB4_51:                               ;   in Loop: Header=BB4_4 Depth=1
	s_andn2_b64 vcc, exec, s[76:77]
	s_cbranch_vccnz .LBB4_3
; %bb.52:                               ;   in Loop: Header=BB4_4 Depth=1
	v_mov_b32_e32 v5, s52
	v_add_co_u32_e32 v4, vcc, s53, v1
	v_addc_co_u32_e32 v5, vcc, v26, v5, vcc
	s_andn2_b64 vcc, exec, s[42:43]
	s_mov_b64 s[72:73], -1
	s_cbranch_vccnz .LBB4_59
; %bb.53:                               ;   in Loop: Header=BB4_4 Depth=1
	s_and_saveexec_b64 s[72:73], s[2:3]
	s_cbranch_execz .LBB4_58
; %bb.54:                               ;   in Loop: Header=BB4_4 Depth=1
	s_lshl_b64 s[44:45], s[62:63], 2
	s_add_u32 s80, s54, s44
	s_addc_u32 s48, s55, s45
	s_mov_b64 s[74:75], 0
	v_pk_mov_b32 v[6:7], v[4:5], v[4:5] op_sel:[0,1]
	v_mov_b32_e32 v8, v0
	s_branch .LBB4_56
.LBB4_55:                               ;   in Loop: Header=BB4_56 Depth=2
	v_mov_b32_e32 v12, s48
	v_add_co_u32_e32 v10, vcc, s80, v10
	v_addc_co_u32_e32 v11, vcc, v12, v11, vcc
	v_add_u32_e32 v8, s4, v8
	v_cmp_le_i32_e32 vcc, s19, v8
	s_waitcnt vmcnt(0)
	global_store_dword v[10:11], v9, off
	v_mov_b32_e32 v9, s67
	s_or_b64 s[74:75], vcc, s[74:75]
	v_add_co_u32_e32 v6, vcc, s66, v6
	v_addc_co_u32_e32 v7, vcc, v7, v9, vcc
	s_andn2_b64 exec, exec, s[74:75]
	s_cbranch_execz .LBB4_58
.LBB4_56:                               ;   Parent Loop BB4_4 Depth=1
                                        ; =>  This Loop Header: Depth=2
                                        ;       Child Loop BB4_57 Depth 3
	v_ashrrev_i32_e32 v9, 31, v8
	v_lshlrev_b64 v[10:11], 2, v[8:9]
	v_mov_b32_e32 v9, s55
	v_add_co_u32_e32 v12, vcc, s54, v10
	v_addc_co_u32_e32 v13, vcc, v9, v11, vcc
	global_load_dword v9, v[12:13], off
	s_andn2_b64 vcc, exec, s[46:47]
	s_mov_b64 s[76:77], s[70:71]
	s_mov_b64 s[78:79], s[68:69]
	v_pk_mov_b32 v[12:13], v[6:7], v[6:7] op_sel:[0,1]
	s_mov_b32 s44, s18
	s_cbranch_vccnz .LBB4_55
.LBB4_57:                               ;   Parent Loop BB4_4 Depth=1
                                        ;     Parent Loop BB4_56 Depth=2
                                        ; =>    This Inner Loop Header: Depth=3
	v_mov_b32_e32 v15, s65
	v_add_co_u32_e32 v14, vcc, s64, v12
	global_load_dword v16, v33, s[76:77]
	v_addc_co_u32_e32 v15, vcc, v13, v15, vcc
	global_load_dword v17, v[14:15], off
	global_load_dword v35, v33, s[78:79]
	s_add_i32 s44, s44, -1
	s_add_u32 s78, s78, 4
	s_addc_u32 s79, s79, 0
	s_add_u32 s76, s76, 4
	s_addc_u32 s77, s77, 0
	s_cmp_eq_u32 s44, 0
	s_waitcnt vmcnt(2)
	v_mul_f32_e32 v36, v9, v16
	s_waitcnt vmcnt(1)
	v_mul_f32_e32 v16, v16, v17
	s_waitcnt vmcnt(0)
	v_fmac_f32_e32 v16, v9, v35
	v_fma_f32 v9, v35, v17, -v36
	global_store_dword v[12:13], v16, off
	v_pk_mov_b32 v[12:13], v[14:15], v[14:15] op_sel:[0,1]
	s_cbranch_scc0 .LBB4_57
	s_branch .LBB4_55
.LBB4_58:                               ;   in Loop: Header=BB4_4 Depth=1
	s_or_b64 exec, exec, s[72:73]
	s_mov_b64 s[72:73], 0
.LBB4_59:                               ;   in Loop: Header=BB4_4 Depth=1
	s_andn2_b64 vcc, exec, s[72:73]
	s_cbranch_vccnz .LBB4_3
; %bb.60:                               ;   in Loop: Header=BB4_4 Depth=1
	v_mov_b32_e32 v7, s52
	v_add_co_u32_e32 v6, vcc, s53, v29
	s_add_u32 s72, s5, s85
	v_addc_co_u32_e32 v7, vcc, v30, v7, vcc
	s_addc_u32 s73, s57, s84
	v_mov_b32_e32 v9, s52
	v_add_co_u32_e32 v8, vcc, s53, v27
	v_readlane_b32 s44, v42, 0
	s_add_u32 s74, s92, s51
	v_addc_co_u32_e32 v9, vcc, v28, v9, vcc
	v_readlane_b32 s45, v42, 1
	s_addc_u32 s75, s93, s50
	s_andn2_b64 vcc, exec, s[44:45]
	s_mov_b64 s[76:77], -1
	s_cbranch_vccnz .LBB4_68
; %bb.61:                               ;   in Loop: Header=BB4_4 Depth=1
	s_and_saveexec_b64 s[76:77], s[2:3]
	s_cbranch_execz .LBB4_67
; %bb.62:                               ;   in Loop: Header=BB4_4 Depth=1
	s_lshl_b64 s[44:45], s[62:63], 2
	s_add_u32 s50, s54, s44
	s_addc_u32 s51, s55, s45
	s_mov_b64 s[78:79], 0
	v_pk_mov_b32 v[10:11], v[6:7], v[6:7] op_sel:[0,1]
	v_pk_mov_b32 v[12:13], v[8:9], v[8:9] op_sel:[0,1]
	v_mov_b32_e32 v14, v0
	s_branch .LBB4_64
.LBB4_63:                               ;   in Loop: Header=BB4_64 Depth=2
	v_mov_b32_e32 v35, s55
	v_add_co_u32_e32 v16, vcc, s54, v16
	v_addc_co_u32_e32 v17, vcc, v35, v17, vcc
	s_waitcnt vmcnt(0)
	global_store_dword v[16:17], v15, off
	v_mov_b32_e32 v15, s67
	v_add_co_u32_e32 v12, vcc, s66, v12
	v_add_u32_e32 v14, s4, v14
	v_addc_co_u32_e32 v13, vcc, v13, v15, vcc
	v_cmp_le_i32_e32 vcc, s19, v14
	s_or_b64 s[78:79], vcc, s[78:79]
	v_add_co_u32_e32 v10, vcc, s66, v10
	v_addc_co_u32_e32 v11, vcc, v11, v15, vcc
	s_andn2_b64 exec, exec, s[78:79]
	s_cbranch_execz .LBB4_67
.LBB4_64:                               ;   Parent Loop BB4_4 Depth=1
                                        ; =>  This Loop Header: Depth=2
                                        ;       Child Loop BB4_66 Depth 3
	v_ashrrev_i32_e32 v15, 31, v14
	v_lshlrev_b64 v[16:17], 2, v[14:15]
	v_mov_b32_e32 v15, s51
	v_add_co_u32_e32 v36, vcc, s50, v16
	v_addc_co_u32_e32 v37, vcc, v15, v17, vcc
	global_load_dword v15, v[36:37], off
	s_andn2_b64 vcc, exec, s[46:47]
	s_cbranch_vccnz .LBB4_63
; %bb.65:                               ;   in Loop: Header=BB4_64 Depth=2
	s_mov_b64 s[80:81], 0
	s_mov_b64 s[82:83], s[74:75]
	;; [unrolled: 1-line block ×3, first 2 shown]
	s_mov_b32 s48, s18
.LBB4_66:                               ;   Parent Loop BB4_4 Depth=1
                                        ;     Parent Loop BB4_64 Depth=2
                                        ; =>    This Inner Loop Header: Depth=3
	v_mov_b32_e32 v39, s81
	v_add_co_u32_e32 v36, vcc, s80, v10
	v_addc_co_u32_e32 v37, vcc, v11, v39, vcc
	global_load_dword v35, v33, s[84:85]
	global_load_dword v38, v33, s[82:83]
	global_load_dword v40, v[36:37], off
	s_add_i32 s48, s48, -1
	v_add_co_u32_e32 v36, vcc, s80, v12
	s_sub_u32 s80, s80, s64
	s_subb_u32 s81, s81, s65
	s_add_u32 s84, s84, -4
	s_addc_u32 s85, s85, -1
	s_add_u32 s82, s82, -4
	s_waitcnt vmcnt(3)
	v_mov_b32_e32 v41, v15
	v_addc_co_u32_e32 v37, vcc, v13, v39, vcc
	s_addc_u32 s83, s83, -1
	s_cmp_eq_u32 s48, 0
	s_waitcnt vmcnt(0)
	v_mul_f32_e32 v39, v38, v40
	v_mul_f32_e32 v15, v35, v40
	v_fma_f32 v35, v41, v35, -v39
	v_fmac_f32_e32 v15, v41, v38
	global_store_dword v[36:37], v35, off
	s_cbranch_scc0 .LBB4_66
	s_branch .LBB4_63
.LBB4_67:                               ;   in Loop: Header=BB4_4 Depth=1
	s_or_b64 exec, exec, s[76:77]
	s_mov_b64 s[76:77], 0
.LBB4_68:                               ;   in Loop: Header=BB4_4 Depth=1
	s_andn2_b64 vcc, exec, s[76:77]
	s_cbranch_vccnz .LBB4_3
; %bb.69:                               ;   in Loop: Header=BB4_4 Depth=1
	v_readlane_b32 s44, v42, 2
	v_readlane_b32 s45, v42, 3
	s_andn2_b64 vcc, exec, s[44:45]
	s_mov_b64 s[76:77], -1
	s_cbranch_vccnz .LBB4_76
; %bb.70:                               ;   in Loop: Header=BB4_4 Depth=1
	s_and_saveexec_b64 s[76:77], s[2:3]
	s_cbranch_execz .LBB4_75
; %bb.71:                               ;   in Loop: Header=BB4_4 Depth=1
	v_mov_b32_e32 v11, s52
	v_add_co_u32_e32 v10, vcc, s53, v31
	v_addc_co_u32_e32 v11, vcc, v32, v11, vcc
	s_mov_b64 s[78:79], 0
	v_mov_b32_e32 v12, v0
	s_branch .LBB4_73
.LBB4_72:                               ;   in Loop: Header=BB4_73 Depth=2
	v_add_u32_e32 v12, s4, v12
	v_cmp_le_i32_e32 vcc, s19, v12
	s_waitcnt vmcnt(0)
	global_store_dword v[14:15], v13, off
	v_mov_b32_e32 v13, s67
	s_or_b64 s[78:79], vcc, s[78:79]
	v_add_co_u32_e32 v10, vcc, s66, v10
	v_addc_co_u32_e32 v11, vcc, v11, v13, vcc
	s_andn2_b64 exec, exec, s[78:79]
	s_cbranch_execz .LBB4_75
.LBB4_73:                               ;   Parent Loop BB4_4 Depth=1
                                        ; =>  This Loop Header: Depth=2
                                        ;       Child Loop BB4_74 Depth 3
	v_ashrrev_i32_e32 v13, 31, v12
	v_lshlrev_b64 v[14:15], 2, v[12:13]
	v_mov_b32_e32 v13, s55
	v_add_co_u32_e32 v14, vcc, s54, v14
	v_addc_co_u32_e32 v15, vcc, v13, v15, vcc
	global_load_dword v13, v[14:15], off
	s_andn2_b64 vcc, exec, s[46:47]
	v_pk_mov_b32 v[16:17], v[10:11], v[10:11] op_sel:[0,1]
	s_mov_b32 s48, s18
	s_mov_b64 s[80:81], s[68:69]
	s_mov_b64 s[82:83], s[70:71]
	s_cbranch_vccnz .LBB4_72
.LBB4_74:                               ;   Parent Loop BB4_4 Depth=1
                                        ;     Parent Loop BB4_73 Depth=2
                                        ; =>    This Inner Loop Header: Depth=3
	global_load_dword v35, v33, s[82:83]
	global_load_dword v36, v[16:17], off
	global_load_dword v37, v33, s[80:81]
	s_waitcnt vmcnt(3)
	v_mov_b32_e32 v38, v13
	s_add_u32 s82, s82, 4
	s_addc_u32 s83, s83, 0
	s_add_u32 s80, s80, 4
	v_mov_b32_e32 v39, s65
	s_addc_u32 s81, s81, 0
	s_add_i32 s48, s48, -1
	s_cmp_eq_u32 s48, 0
	s_waitcnt vmcnt(2)
	v_mul_f32_e32 v40, v38, v35
	s_waitcnt vmcnt(1)
	v_mul_f32_e32 v13, v35, v36
	s_waitcnt vmcnt(0)
	v_fma_f32 v35, v37, v36, -v40
	global_store_dword v[16:17], v35, off
	v_add_co_u32_e32 v16, vcc, s64, v16
	v_fmac_f32_e32 v13, v38, v37
	v_addc_co_u32_e32 v17, vcc, v17, v39, vcc
	s_cbranch_scc0 .LBB4_74
	s_branch .LBB4_72
.LBB4_75:                               ;   in Loop: Header=BB4_4 Depth=1
	s_or_b64 exec, exec, s[76:77]
	s_mov_b64 s[76:77], 0
.LBB4_76:                               ;   in Loop: Header=BB4_4 Depth=1
	s_andn2_b64 vcc, exec, s[76:77]
	s_cbranch_vccnz .LBB4_3
; %bb.77:                               ;   in Loop: Header=BB4_4 Depth=1
	v_readlane_b32 s44, v42, 4
	v_readlane_b32 s45, v42, 5
	s_andn2_b64 vcc, exec, s[44:45]
	s_mov_b64 s[76:77], -1
	s_cbranch_vccnz .LBB4_84
; %bb.78:                               ;   in Loop: Header=BB4_4 Depth=1
	s_and_saveexec_b64 s[76:77], s[2:3]
	s_cbranch_execz .LBB4_83
; %bb.79:                               ;   in Loop: Header=BB4_4 Depth=1
	s_mov_b64 s[78:79], 0
	v_mov_b32_e32 v10, v0
	s_branch .LBB4_81
.LBB4_80:                               ;   in Loop: Header=BB4_81 Depth=2
	v_add_u32_e32 v10, s4, v10
	v_cmp_le_i32_e32 vcc, s19, v10
	s_waitcnt vmcnt(0)
	global_store_dword v[12:13], v11, off
	v_mov_b32_e32 v11, s67
	s_or_b64 s[78:79], vcc, s[78:79]
	v_add_co_u32_e32 v8, vcc, s66, v8
	v_addc_co_u32_e32 v9, vcc, v9, v11, vcc
	s_andn2_b64 exec, exec, s[78:79]
	s_cbranch_execz .LBB4_83
.LBB4_81:                               ;   Parent Loop BB4_4 Depth=1
                                        ; =>  This Loop Header: Depth=2
                                        ;       Child Loop BB4_82 Depth 3
	v_ashrrev_i32_e32 v11, 31, v10
	v_lshlrev_b64 v[12:13], 2, v[10:11]
	v_mov_b32_e32 v11, s55
	v_add_co_u32_e32 v12, vcc, s54, v12
	v_addc_co_u32_e32 v13, vcc, v11, v13, vcc
	global_load_dword v11, v[12:13], off
	s_andn2_b64 vcc, exec, s[46:47]
	v_pk_mov_b32 v[14:15], v[8:9], v[8:9] op_sel:[0,1]
	s_mov_b64 s[80:81], s[74:75]
	s_mov_b64 s[82:83], s[72:73]
	s_mov_b32 s48, s21
	s_cbranch_vccnz .LBB4_80
.LBB4_82:                               ;   Parent Loop BB4_4 Depth=1
                                        ;     Parent Loop BB4_81 Depth=2
                                        ; =>    This Inner Loop Header: Depth=3
	global_load_dword v16, v33, s[80:81]
	global_load_dword v17, v[14:15], off
	global_load_dword v35, v33, s[82:83]
	s_add_i32 s48, s48, -1
	s_waitcnt vmcnt(3)
	v_mov_b32_e32 v36, v11
	s_add_u32 s82, s82, -4
	s_addc_u32 s83, s83, -1
	s_add_u32 s80, s80, -4
	v_mov_b32_e32 v37, s95
	s_addc_u32 s81, s81, -1
	s_cmp_lt_u32 s48, 3
	s_waitcnt vmcnt(2)
	v_mul_f32_e32 v38, v36, v16
	s_waitcnt vmcnt(1)
	v_mul_f32_e32 v11, v16, v17
	s_waitcnt vmcnt(0)
	v_fma_f32 v16, v35, v17, -v38
	global_store_dword v[14:15], v16, off
	v_add_co_u32_e32 v14, vcc, s94, v14
	v_fmac_f32_e32 v11, v36, v35
	v_addc_co_u32_e32 v15, vcc, v15, v37, vcc
	s_cbranch_scc0 .LBB4_82
	s_branch .LBB4_80
.LBB4_83:                               ;   in Loop: Header=BB4_4 Depth=1
	s_or_b64 exec, exec, s[76:77]
	s_mov_b64 s[76:77], 0
.LBB4_84:                               ;   in Loop: Header=BB4_4 Depth=1
	s_andn2_b64 vcc, exec, s[76:77]
	s_cbranch_vccnz .LBB4_3
; %bb.85:                               ;   in Loop: Header=BB4_4 Depth=1
	v_readlane_b32 s44, v42, 6
	v_readlane_b32 s45, v42, 7
	s_andn2_b64 vcc, exec, s[44:45]
	s_mov_b64 s[76:77], -1
	s_cbranch_vccnz .LBB4_92
; %bb.86:                               ;   in Loop: Header=BB4_4 Depth=1
	s_and_saveexec_b64 s[76:77], s[2:3]
	s_cbranch_execz .LBB4_91
; %bb.87:                               ;   in Loop: Header=BB4_4 Depth=1
	s_lshl_b64 s[44:45], s[62:63], 2
	s_add_u32 s50, s54, s44
	s_addc_u32 s48, s55, s45
	s_mov_b64 s[78:79], 0
	v_mov_b32_e32 v8, v0
	s_branch .LBB4_89
.LBB4_88:                               ;   in Loop: Header=BB4_89 Depth=2
	v_add_u32_e32 v8, s4, v8
	v_cmp_le_i32_e32 vcc, s19, v8
	s_waitcnt vmcnt(0)
	global_store_dword v[10:11], v9, off
	v_mov_b32_e32 v9, s67
	s_or_b64 s[78:79], vcc, s[78:79]
	v_add_co_u32_e32 v4, vcc, s66, v4
	v_addc_co_u32_e32 v5, vcc, v5, v9, vcc
	s_andn2_b64 exec, exec, s[78:79]
	s_cbranch_execz .LBB4_91
.LBB4_89:                               ;   Parent Loop BB4_4 Depth=1
                                        ; =>  This Loop Header: Depth=2
                                        ;       Child Loop BB4_90 Depth 3
	v_ashrrev_i32_e32 v9, 31, v8
	v_lshlrev_b64 v[10:11], 2, v[8:9]
	v_mov_b32_e32 v9, s48
	v_add_co_u32_e32 v10, vcc, s50, v10
	v_addc_co_u32_e32 v11, vcc, v9, v11, vcc
	global_load_dword v9, v[10:11], off
	s_andn2_b64 vcc, exec, s[46:47]
	v_pk_mov_b32 v[12:13], v[4:5], v[4:5] op_sel:[0,1]
	s_mov_b64 s[80:81], s[70:71]
	s_mov_b64 s[82:83], s[68:69]
	s_mov_b32 s49, s18
	s_cbranch_vccnz .LBB4_88
.LBB4_90:                               ;   Parent Loop BB4_4 Depth=1
                                        ;     Parent Loop BB4_89 Depth=2
                                        ; =>    This Inner Loop Header: Depth=3
	global_load_dword v14, v[12:13], off
	global_load_dword v15, v33, s[82:83]
	global_load_dword v16, v33, s[80:81]
	s_add_i32 s49, s49, -1
	s_add_u32 s82, s82, 4
	s_addc_u32 s83, s83, 0
	s_add_u32 s80, s80, 4
	v_mov_b32_e32 v17, s65
	s_addc_u32 s81, s81, 0
	s_cmp_eq_u32 s49, 0
	s_waitcnt vmcnt(1)
	v_mul_f32_e32 v35, v15, v14
	s_waitcnt vmcnt(0)
	v_fmac_f32_e32 v35, v9, v16
	v_mul_f32_e32 v14, v16, v14
	global_store_dword v[12:13], v35, off
	v_add_co_u32_e32 v12, vcc, s64, v12
	v_fma_f32 v9, v9, v15, -v14
	v_addc_co_u32_e32 v13, vcc, v13, v17, vcc
	s_cbranch_scc0 .LBB4_90
	s_branch .LBB4_88
.LBB4_91:                               ;   in Loop: Header=BB4_4 Depth=1
	s_or_b64 exec, exec, s[76:77]
	s_mov_b64 s[76:77], 0
.LBB4_92:                               ;   in Loop: Header=BB4_4 Depth=1
	s_andn2_b64 vcc, exec, s[76:77]
	s_cbranch_vccnz .LBB4_3
; %bb.93:                               ;   in Loop: Header=BB4_4 Depth=1
	s_mov_b64 s[68:69], exec
	v_readlane_b32 s44, v42, 8
	v_readlane_b32 s45, v42, 9
	s_and_b64 s[44:45], s[68:69], s[44:45]
	s_mov_b64 exec, s[44:45]
	s_cbranch_execz .LBB4_2
; %bb.94:                               ;   in Loop: Header=BB4_4 Depth=1
	s_lshl_b64 s[44:45], s[62:63], 2
	s_add_u32 s50, s54, s44
	s_addc_u32 s48, s55, s45
	s_mov_b64 s[70:71], 0
	v_mov_b32_e32 v4, v0
	s_branch .LBB4_96
.LBB4_95:                               ;   in Loop: Header=BB4_96 Depth=2
	v_add_u32_e32 v4, s4, v4
	v_cmp_le_i32_e32 vcc, s19, v4
	s_waitcnt vmcnt(0)
	global_store_dword v[8:9], v5, off
	v_mov_b32_e32 v5, s67
	s_or_b64 s[70:71], vcc, s[70:71]
	v_add_co_u32_e32 v6, vcc, s66, v6
	v_addc_co_u32_e32 v7, vcc, v7, v5, vcc
	s_andn2_b64 exec, exec, s[70:71]
	s_cbranch_execz .LBB4_2
.LBB4_96:                               ;   Parent Loop BB4_4 Depth=1
                                        ; =>  This Loop Header: Depth=2
                                        ;       Child Loop BB4_97 Depth 3
	v_ashrrev_i32_e32 v5, 31, v4
	v_lshlrev_b64 v[8:9], 2, v[4:5]
	v_mov_b32_e32 v5, s48
	v_add_co_u32_e32 v8, vcc, s50, v8
	v_addc_co_u32_e32 v9, vcc, v5, v9, vcc
	global_load_dword v5, v[8:9], off
	s_andn2_b64 vcc, exec, s[46:47]
	v_pk_mov_b32 v[10:11], v[6:7], v[6:7] op_sel:[0,1]
	s_mov_b64 s[76:77], s[74:75]
	s_mov_b64 s[78:79], s[72:73]
	s_mov_b32 s49, s18
	s_cbranch_vccnz .LBB4_95
.LBB4_97:                               ;   Parent Loop BB4_4 Depth=1
                                        ;     Parent Loop BB4_96 Depth=2
                                        ; =>    This Inner Loop Header: Depth=3
	global_load_dword v12, v[10:11], off
	global_load_dword v13, v33, s[78:79]
	global_load_dword v14, v33, s[76:77]
	s_add_i32 s49, s49, -1
	s_add_u32 s78, s78, -4
	s_addc_u32 s79, s79, -1
	s_add_u32 s76, s76, -4
	v_mov_b32_e32 v15, s95
	s_addc_u32 s77, s77, -1
	s_cmp_eq_u32 s49, 0
	s_waitcnt vmcnt(1)
	v_mul_f32_e32 v16, v13, v12
	s_waitcnt vmcnt(0)
	v_fmac_f32_e32 v16, v5, v14
	v_mul_f32_e32 v12, v14, v12
	global_store_dword v[10:11], v16, off
	v_add_co_u32_e32 v10, vcc, s94, v10
	v_fma_f32 v5, v5, v13, -v12
	v_addc_co_u32_e32 v11, vcc, v11, v15, vcc
	s_cbranch_scc0 .LBB4_97
	s_branch .LBB4_95
.LBB4_98:
	s_endpgm
	.section	.rodata,"a",@progbits
	.p2align	6, 0x0
	.amdhsa_kernel _ZN9rocsolver6v33100L11lasr_kernelIffPfiEEv13rocblas_side_14rocblas_pivot_15rocblas_direct_T2_S6_PT0_lS8_lT1_lS6_lS6_
		.amdhsa_group_segment_fixed_size 0
		.amdhsa_private_segment_fixed_size 0
		.amdhsa_kernarg_size 352
		.amdhsa_user_sgpr_count 6
		.amdhsa_user_sgpr_private_segment_buffer 1
		.amdhsa_user_sgpr_dispatch_ptr 0
		.amdhsa_user_sgpr_queue_ptr 0
		.amdhsa_user_sgpr_kernarg_segment_ptr 1
		.amdhsa_user_sgpr_dispatch_id 0
		.amdhsa_user_sgpr_flat_scratch_init 0
		.amdhsa_user_sgpr_kernarg_preload_length 0
		.amdhsa_user_sgpr_kernarg_preload_offset 0
		.amdhsa_user_sgpr_private_segment_size 0
		.amdhsa_uses_dynamic_stack 0
		.amdhsa_system_sgpr_private_segment_wavefront_offset 0
		.amdhsa_system_sgpr_workgroup_id_x 1
		.amdhsa_system_sgpr_workgroup_id_y 0
		.amdhsa_system_sgpr_workgroup_id_z 1
		.amdhsa_system_sgpr_workgroup_info 0
		.amdhsa_system_vgpr_workitem_id 0
		.amdhsa_next_free_vgpr 43
		.amdhsa_next_free_sgpr 96
		.amdhsa_accum_offset 44
		.amdhsa_reserve_vcc 1
		.amdhsa_reserve_flat_scratch 0
		.amdhsa_float_round_mode_32 0
		.amdhsa_float_round_mode_16_64 0
		.amdhsa_float_denorm_mode_32 3
		.amdhsa_float_denorm_mode_16_64 3
		.amdhsa_dx10_clamp 1
		.amdhsa_ieee_mode 1
		.amdhsa_fp16_overflow 0
		.amdhsa_tg_split 0
		.amdhsa_exception_fp_ieee_invalid_op 0
		.amdhsa_exception_fp_denorm_src 0
		.amdhsa_exception_fp_ieee_div_zero 0
		.amdhsa_exception_fp_ieee_overflow 0
		.amdhsa_exception_fp_ieee_underflow 0
		.amdhsa_exception_fp_ieee_inexact 0
		.amdhsa_exception_int_div_zero 0
	.end_amdhsa_kernel
	.section	.text._ZN9rocsolver6v33100L11lasr_kernelIffPfiEEv13rocblas_side_14rocblas_pivot_15rocblas_direct_T2_S6_PT0_lS8_lT1_lS6_lS6_,"axG",@progbits,_ZN9rocsolver6v33100L11lasr_kernelIffPfiEEv13rocblas_side_14rocblas_pivot_15rocblas_direct_T2_S6_PT0_lS8_lT1_lS6_lS6_,comdat
.Lfunc_end4:
	.size	_ZN9rocsolver6v33100L11lasr_kernelIffPfiEEv13rocblas_side_14rocblas_pivot_15rocblas_direct_T2_S6_PT0_lS8_lT1_lS6_lS6_, .Lfunc_end4-_ZN9rocsolver6v33100L11lasr_kernelIffPfiEEv13rocblas_side_14rocblas_pivot_15rocblas_direct_T2_S6_PT0_lS8_lT1_lS6_lS6_
                                        ; -- End function
	.section	.AMDGPU.csdata,"",@progbits
; Kernel info:
; codeLenInByte = 4508
; NumSgprs: 100
; NumVgprs: 43
; NumAgprs: 0
; TotalNumVgprs: 43
; ScratchSize: 0
; MemoryBound: 0
; FloatMode: 240
; IeeeMode: 1
; LDSByteSize: 0 bytes/workgroup (compile time only)
; SGPRBlocks: 12
; VGPRBlocks: 5
; NumSGPRsForWavesPerEU: 100
; NumVGPRsForWavesPerEU: 43
; AccumOffset: 44
; Occupancy: 8
; WaveLimiterHint : 0
; COMPUTE_PGM_RSRC2:SCRATCH_EN: 0
; COMPUTE_PGM_RSRC2:USER_SGPR: 6
; COMPUTE_PGM_RSRC2:TRAP_HANDLER: 0
; COMPUTE_PGM_RSRC2:TGID_X_EN: 1
; COMPUTE_PGM_RSRC2:TGID_Y_EN: 0
; COMPUTE_PGM_RSRC2:TGID_Z_EN: 1
; COMPUTE_PGM_RSRC2:TIDIG_COMP_CNT: 0
; COMPUTE_PGM_RSRC3_GFX90A:ACCUM_OFFSET: 10
; COMPUTE_PGM_RSRC3_GFX90A:TG_SPLIT: 0
	.section	.text._ZN9rocsolver6v33100L11scal_kernelIffiEEvT1_T_PT0_S2_,"axG",@progbits,_ZN9rocsolver6v33100L11scal_kernelIffiEEvT1_T_PT0_S2_,comdat
	.globl	_ZN9rocsolver6v33100L11scal_kernelIffiEEvT1_T_PT0_S2_ ; -- Begin function _ZN9rocsolver6v33100L11scal_kernelIffiEEvT1_T_PT0_S2_
	.p2align	8
	.type	_ZN9rocsolver6v33100L11scal_kernelIffiEEvT1_T_PT0_S2_,@function
_ZN9rocsolver6v33100L11scal_kernelIffiEEvT1_T_PT0_S2_: ; @_ZN9rocsolver6v33100L11scal_kernelIffiEEvT1_T_PT0_S2_
; %bb.0:
	s_load_dwordx2 s[2:3], s[4:5], 0x0
	s_waitcnt lgkmcnt(0)
	s_cmp_lt_i32 s2, 1
	s_cbranch_scc1 .LBB5_10
; %bb.1:
	s_load_dword s0, s[4:5], 0x24
	s_load_dword s1, s[4:5], 0x18
	s_load_dwordx2 s[8:9], s[4:5], 0x8
	s_load_dword s10, s[4:5], 0x10
	s_waitcnt lgkmcnt(0)
	s_and_b32 s0, s0, 0xffff
	s_mul_i32 s6, s6, s0
	v_add_u32_e32 v0, s6, v0
	s_mul_i32 s4, s1, s0
	s_cmp_eq_u32 s10, 1
	v_cmp_gt_i32_e64 s[0:1], s2, v0
	s_mov_b64 s[6:7], -1
	s_cbranch_scc1 .LBB5_6
; %bb.2:
	s_and_saveexec_b64 s[6:7], s[0:1]
	s_cbranch_execz .LBB5_5
; %bb.3:
	v_mad_i64_i32 v[2:3], s[12:13], s10, v0, 0
	v_lshlrev_b64 v[2:3], 2, v[2:3]
	s_mul_hi_i32 s11, s10, s4
	s_mul_i32 s10, s10, s4
	v_mov_b32_e32 v1, s9
	v_add_co_u32_e32 v2, vcc, s8, v2
	s_lshl_b64 s[10:11], s[10:11], 2
	v_addc_co_u32_e32 v3, vcc, v1, v3, vcc
	s_mov_b64 s[12:13], 0
	v_mov_b32_e32 v1, s11
	v_mov_b32_e32 v4, v0
.LBB5_4:                                ; =>This Inner Loop Header: Depth=1
	global_load_dword v5, v[2:3], off
	v_add_u32_e32 v4, s4, v4
	v_cmp_le_i32_e32 vcc, s2, v4
	s_or_b64 s[12:13], vcc, s[12:13]
	s_waitcnt vmcnt(0)
	v_mul_f32_e32 v5, s3, v5
	global_store_dword v[2:3], v5, off
	v_add_co_u32_e32 v2, vcc, s10, v2
	v_addc_co_u32_e32 v3, vcc, v3, v1, vcc
	s_andn2_b64 exec, exec, s[12:13]
	s_cbranch_execnz .LBB5_4
.LBB5_5:
	s_or_b64 exec, exec, s[6:7]
	s_mov_b64 s[6:7], 0
.LBB5_6:
	s_andn2_b64 vcc, exec, s[6:7]
	s_cbranch_vccnz .LBB5_10
; %bb.7:
	s_and_saveexec_b64 s[6:7], s[0:1]
	s_cbranch_execz .LBB5_10
; %bb.8:
	v_ashrrev_i32_e32 v1, 31, v0
	v_lshlrev_b64 v[2:3], 2, v[0:1]
	s_ashr_i32 s5, s4, 31
	v_mov_b32_e32 v1, s9
	v_add_co_u32_e32 v2, vcc, s8, v2
	s_lshl_b64 s[0:1], s[4:5], 2
	v_addc_co_u32_e32 v3, vcc, v1, v3, vcc
	s_mov_b64 s[6:7], 0
	v_mov_b32_e32 v1, s1
.LBB5_9:                                ; =>This Inner Loop Header: Depth=1
	global_load_dword v4, v[2:3], off
	v_add_u32_e32 v0, s4, v0
	v_cmp_le_i32_e32 vcc, s2, v0
	s_or_b64 s[6:7], vcc, s[6:7]
	s_waitcnt vmcnt(0)
	v_mul_f32_e32 v4, s3, v4
	global_store_dword v[2:3], v4, off
	v_add_co_u32_e32 v2, vcc, s0, v2
	v_addc_co_u32_e32 v3, vcc, v3, v1, vcc
	s_andn2_b64 exec, exec, s[6:7]
	s_cbranch_execnz .LBB5_9
.LBB5_10:
	s_endpgm
	.section	.rodata,"a",@progbits
	.p2align	6, 0x0
	.amdhsa_kernel _ZN9rocsolver6v33100L11scal_kernelIffiEEvT1_T_PT0_S2_
		.amdhsa_group_segment_fixed_size 0
		.amdhsa_private_segment_fixed_size 0
		.amdhsa_kernarg_size 280
		.amdhsa_user_sgpr_count 6
		.amdhsa_user_sgpr_private_segment_buffer 1
		.amdhsa_user_sgpr_dispatch_ptr 0
		.amdhsa_user_sgpr_queue_ptr 0
		.amdhsa_user_sgpr_kernarg_segment_ptr 1
		.amdhsa_user_sgpr_dispatch_id 0
		.amdhsa_user_sgpr_flat_scratch_init 0
		.amdhsa_user_sgpr_kernarg_preload_length 0
		.amdhsa_user_sgpr_kernarg_preload_offset 0
		.amdhsa_user_sgpr_private_segment_size 0
		.amdhsa_uses_dynamic_stack 0
		.amdhsa_system_sgpr_private_segment_wavefront_offset 0
		.amdhsa_system_sgpr_workgroup_id_x 1
		.amdhsa_system_sgpr_workgroup_id_y 0
		.amdhsa_system_sgpr_workgroup_id_z 0
		.amdhsa_system_sgpr_workgroup_info 0
		.amdhsa_system_vgpr_workitem_id 0
		.amdhsa_next_free_vgpr 6
		.amdhsa_next_free_sgpr 14
		.amdhsa_accum_offset 8
		.amdhsa_reserve_vcc 1
		.amdhsa_reserve_flat_scratch 0
		.amdhsa_float_round_mode_32 0
		.amdhsa_float_round_mode_16_64 0
		.amdhsa_float_denorm_mode_32 3
		.amdhsa_float_denorm_mode_16_64 3
		.amdhsa_dx10_clamp 1
		.amdhsa_ieee_mode 1
		.amdhsa_fp16_overflow 0
		.amdhsa_tg_split 0
		.amdhsa_exception_fp_ieee_invalid_op 0
		.amdhsa_exception_fp_denorm_src 0
		.amdhsa_exception_fp_ieee_div_zero 0
		.amdhsa_exception_fp_ieee_overflow 0
		.amdhsa_exception_fp_ieee_underflow 0
		.amdhsa_exception_fp_ieee_inexact 0
		.amdhsa_exception_int_div_zero 0
	.end_amdhsa_kernel
	.section	.text._ZN9rocsolver6v33100L11scal_kernelIffiEEvT1_T_PT0_S2_,"axG",@progbits,_ZN9rocsolver6v33100L11scal_kernelIffiEEvT1_T_PT0_S2_,comdat
.Lfunc_end5:
	.size	_ZN9rocsolver6v33100L11scal_kernelIffiEEvT1_T_PT0_S2_, .Lfunc_end5-_ZN9rocsolver6v33100L11scal_kernelIffiEEvT1_T_PT0_S2_
                                        ; -- End function
	.section	.AMDGPU.csdata,"",@progbits
; Kernel info:
; codeLenInByte = 328
; NumSgprs: 18
; NumVgprs: 6
; NumAgprs: 0
; TotalNumVgprs: 6
; ScratchSize: 0
; MemoryBound: 0
; FloatMode: 240
; IeeeMode: 1
; LDSByteSize: 0 bytes/workgroup (compile time only)
; SGPRBlocks: 2
; VGPRBlocks: 0
; NumSGPRsForWavesPerEU: 18
; NumVGPRsForWavesPerEU: 6
; AccumOffset: 8
; Occupancy: 8
; WaveLimiterHint : 0
; COMPUTE_PGM_RSRC2:SCRATCH_EN: 0
; COMPUTE_PGM_RSRC2:USER_SGPR: 6
; COMPUTE_PGM_RSRC2:TRAP_HANDLER: 0
; COMPUTE_PGM_RSRC2:TGID_X_EN: 1
; COMPUTE_PGM_RSRC2:TGID_Y_EN: 0
; COMPUTE_PGM_RSRC2:TGID_Z_EN: 0
; COMPUTE_PGM_RSRC2:TIDIG_COMP_CNT: 0
; COMPUTE_PGM_RSRC3_GFX90A:ACCUM_OFFSET: 1
; COMPUTE_PGM_RSRC3_GFX90A:TG_SPLIT: 0
	.section	.text._ZN9rocsolver6v33100L17bdsqr_lower2upperIffPfS2_EEviiiPT0_lS4_lT1_iilT2_iilPiS4_lS7_,"axG",@progbits,_ZN9rocsolver6v33100L17bdsqr_lower2upperIffPfS2_EEviiiPT0_lS4_lT1_iilT2_iilPiS4_lS7_,comdat
	.globl	_ZN9rocsolver6v33100L17bdsqr_lower2upperIffPfS2_EEviiiPT0_lS4_lT1_iilT2_iilPiS4_lS7_ ; -- Begin function _ZN9rocsolver6v33100L17bdsqr_lower2upperIffPfS2_EEviiiPT0_lS4_lT1_iilT2_iilPiS4_lS7_
	.p2align	8
	.type	_ZN9rocsolver6v33100L17bdsqr_lower2upperIffPfS2_EEviiiPT0_lS4_lT1_iilT2_iilPiS4_lS7_,@function
_ZN9rocsolver6v33100L17bdsqr_lower2upperIffPfS2_EEviiiPT0_lS4_lT1_iilT2_iilPiS4_lS7_: ; @_ZN9rocsolver6v33100L17bdsqr_lower2upperIffPfS2_EEviiiPT0_lS4_lT1_iilT2_iilPiS4_lS7_
; %bb.0:
	s_load_dwordx2 s[0:1], s[4:5], 0x78
	s_mov_b32 s28, s7
	s_ashr_i32 s29, s7, 31
	s_lshl_b64 s[2:3], s[28:29], 2
	s_waitcnt lgkmcnt(0)
	s_add_u32 s0, s0, s2
	s_addc_u32 s1, s1, s3
	s_load_dword s0, s[0:1], 0x8
	s_waitcnt lgkmcnt(0)
	s_cmp_lg_u32 s0, 0
	s_cbranch_scc1 .LBB6_34
; %bb.1:
	s_load_dwordx8 s[8:15], s[4:5], 0x30
	s_load_dwordx4 s[0:3], s[4:5], 0x68
	s_mov_b64 s[6:7], 0
	s_mov_b64 s[24:25], 0
	s_waitcnt lgkmcnt(0)
	s_cmp_eq_u64 s[8:9], 0
	s_cbranch_scc1 .LBB6_3
; %bb.2:
	s_ashr_i32 s17, s10, 31
	s_mov_b32 s16, s10
	s_mul_i32 s10, s28, s13
	s_mul_hi_u32 s13, s28, s12
	s_add_i32 s10, s13, s10
	s_mul_i32 s13, s29, s12
	s_add_i32 s13, s10, s13
	s_mul_i32 s12, s28, s12
	s_lshl_b64 s[12:13], s[12:13], 2
	s_add_u32 s10, s8, s12
	s_addc_u32 s12, s9, s13
	s_lshl_b64 s[8:9], s[16:17], 2
	s_add_u32 s24, s10, s8
	s_addc_u32 s25, s12, s9
.LBB6_3:
	s_load_dwordx2 s[8:9], s[4:5], 0x50
	s_cmp_eq_u64 s[14:15], 0
	s_cbranch_scc1 .LBB6_5
; %bb.4:
	s_load_dwordx2 s[6:7], s[4:5], 0x58
	s_waitcnt lgkmcnt(0)
	s_ashr_i32 s13, s8, 31
	s_mov_b32 s12, s8
	s_mul_i32 s7, s28, s7
	s_mul_hi_u32 s8, s28, s6
	s_mul_i32 s10, s29, s6
	s_add_i32 s7, s8, s7
	s_add_i32 s7, s7, s10
	s_mul_i32 s6, s28, s6
	s_lshl_b64 s[6:7], s[6:7], 2
	s_add_u32 s8, s14, s6
	s_addc_u32 s10, s15, s7
	s_lshl_b64 s[6:7], s[12:13], 2
	s_add_u32 s6, s8, s6
	s_addc_u32 s7, s10, s7
.LBB6_5:
	s_mul_i32 s3, s28, s3
	s_waitcnt lgkmcnt(0)
	s_mul_hi_u32 s8, s28, s2
	s_load_dwordx4 s[20:23], s[4:5], 0x0
	s_add_i32 s3, s8, s3
	s_mul_i32 s8, s29, s2
	s_add_i32 s3, s3, s8
	s_mul_i32 s2, s28, s2
	s_lshl_b64 s[2:3], s[2:3], 2
	s_add_u32 s8, s0, s2
	s_waitcnt lgkmcnt(0)
	s_addc_u32 s23, s1, s3
	v_cmp_eq_u32_e32 vcc, 0, v0
	s_and_saveexec_b64 s[2:3], vcc
	s_cbranch_execz .LBB6_22
; %bb.6:
	s_load_dwordx8 s[12:19], s[4:5], 0x10
	s_waitcnt lgkmcnt(0)
	s_mul_i32 s0, s28, s15
	s_mul_hi_u32 s1, s28, s14
	s_mul_i32 s10, s29, s14
	s_add_i32 s0, s1, s0
	s_add_i32 s1, s0, s10
	s_mul_i32 s0, s28, s14
	s_lshl_b64 s[0:1], s[0:1], 2
	s_add_u32 s14, s12, s0
	s_addc_u32 s15, s13, s1
	s_load_dword s10, s[14:15], 0x0
	s_add_i32 s26, s20, -1
	s_cmp_lt_i32 s20, 2
	s_waitcnt lgkmcnt(0)
	v_mov_b32_e32 v3, s10
	s_cbranch_scc1 .LBB6_21
; %bb.7:
	s_mul_i32 s19, s28, s19
	s_mul_hi_u32 s27, s28, s18
	s_add_i32 s19, s27, s19
	s_mul_i32 s27, s29, s18
	s_add_i32 s19, s19, s27
	s_mul_i32 s18, s28, s18
	s_lshl_b64 s[18:19], s[18:19], 2
	s_add_u32 s30, s18, s16
	s_addc_u32 s31, s19, s17
	s_or_b32 s18, s22, s21
	s_cmp_lg_u32 s18, 0
	s_cselect_b64 s[18:19], -1, 0
	s_add_u32 s28, s8, 16
	s_addc_u32 s29, s23, 0
	s_load_dword s16, s[30:31], 0x0
	s_add_u32 s0, s0, s12
	s_addc_u32 s1, s1, s13
	s_add_u32 s12, s0, 4
	s_addc_u32 s13, s1, 0
	s_add_u32 s30, s30, 4
	s_mov_b32 s17, 0
	s_addc_u32 s31, s31, 0
	v_mov_b32_e32 v3, s10
	s_waitcnt lgkmcnt(0)
	v_mov_b32_e32 v4, s16
	s_mov_b32 s10, 0xf800000
	v_mov_b32_e32 v1, 0x260
	v_mov_b32_e32 v2, 0
	s_mov_b64 s[34:35], s[28:29]
	s_mov_b32 s27, 0
	s_branch .LBB6_9
.LBB6_8:                                ;   in Loop: Header=BB6_9 Depth=1
	s_add_i32 s27, s27, 1
	s_add_u32 s34, s34, 4
	s_addc_u32 s35, s35, 0
	s_add_u32 s12, s12, 4
	s_addc_u32 s13, s13, 0
	;; [unrolled: 2-line block ×3, first 2 shown]
	s_cmp_lg_u32 s26, s27
	s_waitcnt vmcnt(0)
	v_mul_f32_e32 v3, v5, v3
	s_cbranch_scc0 .LBB6_21
.LBB6_9:                                ; =>This Inner Loop Header: Depth=1
	v_cmp_eq_f32_e32 vcc, 0, v4
	s_cbranch_vccnz .LBB6_13
; %bb.10:                               ;   in Loop: Header=BB6_9 Depth=1
	v_cmp_neq_f32_e32 vcc, 0, v3
	s_cbranch_vccz .LBB6_14
; %bb.11:                               ;   in Loop: Header=BB6_9 Depth=1
	v_cmp_ngt_f32_e64 s[0:1], |v4|, |v3|
	s_and_b64 vcc, exec, s[0:1]
	s_cbranch_vccz .LBB6_15
; %bb.12:                               ;   in Loop: Header=BB6_9 Depth=1
	v_div_scale_f32 v5, s[0:1], v3, v3, -v4
	v_rcp_f32_e32 v6, v5
	v_div_scale_f32 v7, vcc, -v4, v3, -v4
	v_fma_f32 v8, -v5, v6, 1.0
	v_fmac_f32_e32 v6, v8, v6
	v_mul_f32_e32 v8, v7, v6
	v_fma_f32 v9, -v5, v8, v7
	v_fmac_f32_e32 v8, v9, v6
	v_fma_f32 v5, -v5, v8, v7
	v_div_fmas_f32 v5, v5, v6, v8
	v_div_fixup_f32 v6, v5, v3, -v4
	v_fma_f32 v5, v6, v6, 1.0
	v_mul_f32_e32 v7, 0x4f800000, v5
	v_cmp_gt_f32_e32 vcc, s10, v5
	v_cndmask_b32_e32 v5, v5, v7, vcc
	v_sqrt_f32_e32 v7, v5
	v_add_u32_e32 v8, -1, v7
	v_fma_f32 v9, -v8, v7, v5
	v_cmp_ge_f32_e64 s[0:1], 0, v9
	v_add_u32_e32 v9, 1, v7
	v_cndmask_b32_e64 v8, v7, v8, s[0:1]
	v_fma_f32 v7, -v9, v7, v5
	v_cmp_lt_f32_e64 s[0:1], 0, v7
	v_cndmask_b32_e64 v7, v8, v9, s[0:1]
	v_mul_f32_e32 v8, 0x37800000, v7
	v_cndmask_b32_e32 v7, v7, v8, vcc
	v_cmp_class_f32_e32 vcc, v5, v1
	v_cndmask_b32_e32 v5, v7, v5, vcc
	v_div_scale_f32 v7, s[0:1], v5, v5, 1.0
	v_rcp_f32_e32 v8, v7
	v_fma_f32 v9, -v7, v8, 1.0
	v_fmac_f32_e32 v8, v9, v8
	v_div_scale_f32 v9, vcc, 1.0, v5, 1.0
	v_mul_f32_e32 v10, v9, v8
	v_fma_f32 v11, -v7, v10, v9
	v_fmac_f32_e32 v10, v11, v8
	v_fma_f32 v7, -v7, v10, v9
	v_div_fmas_f32 v7, v7, v8, v10
	v_div_fixup_f32 v5, v7, v5, 1.0
	v_mul_f32_e32 v6, v6, v5
	s_cbranch_execz .LBB6_16
	s_branch .LBB6_17
.LBB6_13:                               ;   in Loop: Header=BB6_9 Depth=1
	v_mov_b32_e32 v5, 1.0
	v_mov_b32_e32 v6, 0
	s_branch .LBB6_19
.LBB6_14:                               ;   in Loop: Header=BB6_9 Depth=1
                                        ; implicit-def: $vgpr3
                                        ; implicit-def: $vgpr6
                                        ; implicit-def: $vgpr5
	s_cbranch_execnz .LBB6_18
	s_branch .LBB6_19
.LBB6_15:                               ;   in Loop: Header=BB6_9 Depth=1
                                        ; implicit-def: $vgpr6
                                        ; implicit-def: $vgpr5
.LBB6_16:                               ;   in Loop: Header=BB6_9 Depth=1
	v_div_scale_f32 v5, s[0:1], v4, v4, -v3
	v_rcp_f32_e32 v6, v5
	v_div_scale_f32 v7, vcc, -v3, v4, -v3
	v_fma_f32 v8, -v5, v6, 1.0
	v_fmac_f32_e32 v6, v8, v6
	v_mul_f32_e32 v8, v7, v6
	v_fma_f32 v9, -v5, v8, v7
	v_fmac_f32_e32 v8, v9, v6
	v_fma_f32 v5, -v5, v8, v7
	v_div_fmas_f32 v5, v5, v6, v8
	v_div_fixup_f32 v5, v5, v4, -v3
	v_fma_f32 v6, v5, v5, 1.0
	v_mul_f32_e32 v7, 0x4f800000, v6
	v_cmp_gt_f32_e32 vcc, s10, v6
	v_cndmask_b32_e32 v6, v6, v7, vcc
	v_sqrt_f32_e32 v7, v6
	v_add_u32_e32 v8, -1, v7
	v_fma_f32 v9, -v8, v7, v6
	v_cmp_ge_f32_e64 s[0:1], 0, v9
	v_add_u32_e32 v9, 1, v7
	v_cndmask_b32_e64 v8, v7, v8, s[0:1]
	v_fma_f32 v7, -v9, v7, v6
	v_cmp_lt_f32_e64 s[0:1], 0, v7
	v_cndmask_b32_e64 v7, v8, v9, s[0:1]
	v_mul_f32_e32 v8, 0x37800000, v7
	v_cndmask_b32_e32 v7, v7, v8, vcc
	v_cmp_class_f32_e32 vcc, v6, v1
	v_cndmask_b32_e32 v6, v7, v6, vcc
	v_div_scale_f32 v7, s[0:1], v6, v6, 1.0
	v_rcp_f32_e32 v8, v7
	v_fma_f32 v9, -v7, v8, 1.0
	v_fmac_f32_e32 v8, v9, v8
	v_div_scale_f32 v9, vcc, 1.0, v6, 1.0
	v_mul_f32_e32 v10, v9, v8
	v_fma_f32 v11, -v7, v10, v9
	v_fmac_f32_e32 v10, v11, v8
	v_fma_f32 v7, -v7, v10, v9
	v_div_fmas_f32 v7, v7, v8, v10
	v_div_fixup_f32 v6, v7, v6, 1.0
	v_mul_f32_e32 v5, v5, v6
.LBB6_17:                               ;   in Loop: Header=BB6_9 Depth=1
	v_mul_f32_e32 v7, v4, v6
	v_fma_f32 v3, v3, v5, -v7
	s_branch .LBB6_19
.LBB6_18:                               ;   in Loop: Header=BB6_9 Depth=1
	v_xor_b32_e32 v3, 0x80000000, v4
	v_mov_b32_e32 v5, 0
	v_mov_b32_e32 v6, 1.0
.LBB6_19:                               ;   in Loop: Header=BB6_9 Depth=1
	global_load_dword v7, v2, s[12:13]
	s_andn2_b64 vcc, exec, s[18:19]
	global_store_dword v2, v3, s[12:13] offset:-4
	global_load_dword v4, v2, s[30:31]
	s_waitcnt vmcnt(2)
	v_mul_f32_e64 v3, v7, -v6
	global_store_dword v2, v3, s[30:31] offset:-4
	global_load_dword v3, v2, s[12:13]
	s_cbranch_vccnz .LBB6_8
; %bb.20:                               ;   in Loop: Header=BB6_9 Depth=1
	s_add_i32 s16, s20, s27
	s_lshl_b64 s[0:1], s[16:17], 2
	s_add_u32 s0, s28, s0
	s_addc_u32 s1, s29, s1
	global_store_dword v2, v5, s[34:35]
	global_store_dword v2, v6, s[0:1]
	s_branch .LBB6_8
.LBB6_21:
	s_ashr_i32 s27, s26, 31
	s_lshl_b64 s[0:1], s[26:27], 2
	s_add_u32 s0, s14, s0
	s_addc_u32 s1, s15, s1
	v_mov_b32_e32 v1, 0
	global_store_dword v1, v3, s[0:1]
.LBB6_22:
	s_or_b64 exec, exec, s[2:3]
	v_cmp_gt_i32_e32 vcc, s21, v0
	s_barrier
	s_and_saveexec_b64 s[2:3], vcc
	s_cbranch_execz .LBB6_28
; %bb.23:
	s_load_dword s10, s[4:5], 0x8c
	s_add_i32 s28, s20, -1
	s_cmp_gt_i32 s20, 1
	s_cselect_b64 s[0:1], -1, 0
	s_mul_i32 s18, s28, s11
	s_waitcnt lgkmcnt(0)
	s_and_b32 s29, s10, 0xffff
	s_add_u32 s12, s8, 16
	s_addc_u32 s13, s23, 0
	s_ashr_i32 s19, s18, 31
	s_ashr_i32 s15, s11, 31
	s_mov_b32 s14, s11
	s_lshl_b64 s[10:11], s[14:15], 2
	s_mov_b32 s15, 0
	s_mov_b32 s14, s20
	v_cndmask_b32_e64 v2, 0, 1, s[0:1]
	s_lshl_b64 s[18:19], s[18:19], 2
	s_lshl_b64 s[14:15], s[14:15], 2
	s_mov_b64 s[16:17], 0
	v_mov_b32_e32 v1, s25
	v_cmp_ne_u32_e64 s[0:1], 1, v2
	v_mov_b32_e32 v8, 0
	v_mov_b32_e32 v9, s19
	;; [unrolled: 1-line block ×3, first 2 shown]
	s_branch .LBB6_25
.LBB6_24:                               ;   in Loop: Header=BB6_25 Depth=1
	v_add_co_u32_e32 v4, vcc, s18, v4
	v_addc_co_u32_e32 v5, vcc, v5, v9, vcc
	v_add_u32_e32 v2, s29, v2
	v_cmp_le_i32_e32 vcc, s21, v2
	s_or_b64 s[16:17], vcc, s[16:17]
	s_waitcnt vmcnt(0) lgkmcnt(0)
	flat_store_dword v[4:5], v3
	s_andn2_b64 exec, exec, s[16:17]
	s_cbranch_execz .LBB6_28
.LBB6_25:                               ; =>This Loop Header: Depth=1
                                        ;     Child Loop BB6_27 Depth 2
	v_ashrrev_i32_e32 v3, 31, v2
	v_lshlrev_b64 v[4:5], 2, v[2:3]
	v_add_co_u32_e32 v4, vcc, s24, v4
	v_addc_co_u32_e32 v5, vcc, v1, v5, vcc
	flat_load_dword v3, v[4:5]
	s_and_b64 vcc, exec, s[0:1]
	s_cbranch_vccnz .LBB6_24
; %bb.26:                               ;   in Loop: Header=BB6_25 Depth=1
	s_mov_b32 s19, s28
	s_mov_b64 s[26:27], s[12:13]
	v_pk_mov_b32 v[6:7], v[4:5], v[4:5] op_sel:[0,1]
.LBB6_27:                               ;   Parent Loop BB6_25 Depth=1
                                        ; =>  This Inner Loop Header: Depth=2
	v_mov_b32_e32 v11, s11
	v_add_co_u32_e32 v10, vcc, s10, v6
	v_addc_co_u32_e32 v11, vcc, v7, v11, vcc
	s_add_u32 s30, s26, s14
	flat_load_dword v12, v[10:11]
	s_addc_u32 s31, s27, s15
	global_load_dword v13, v8, s[30:31]
	global_load_dword v14, v8, s[26:27]
	s_add_u32 s26, s26, 4
	s_addc_u32 s27, s27, 0
	s_add_i32 s19, s19, -1
	s_cmp_lg_u32 s19, 0
	s_waitcnt vmcnt(0) lgkmcnt(0)
	v_mul_f32_e32 v15, v12, v13
	v_fma_f32 v15, v3, v14, -v15
	v_mul_f32_e32 v3, v3, v13
	flat_store_dword v[6:7], v15
	v_fmac_f32_e32 v3, v12, v14
	v_pk_mov_b32 v[6:7], v[10:11], v[10:11] op_sel:[0,1]
	s_cbranch_scc1 .LBB6_27
	s_branch .LBB6_24
.LBB6_28:
	s_or_b64 exec, exec, s[2:3]
	v_cmp_gt_i32_e32 vcc, s22, v0
	s_and_saveexec_b64 s[0:1], vcc
	s_cbranch_execz .LBB6_34
; %bb.29:
	s_load_dword s3, s[4:5], 0x8c
	s_add_i32 s2, s20, -1
	s_cmp_gt_i32 s20, 1
	s_cselect_b64 s[0:1], -1, 0
	s_mov_b32 s21, 0
	s_waitcnt lgkmcnt(0)
	s_and_b32 s18, s3, 0xffff
	s_add_u32 s4, s8, 16
	s_addc_u32 s5, s23, 0
	s_ashr_i32 s3, s2, 31
	v_cndmask_b32_e64 v3, 0, 1, s[0:1]
	s_lshl_b64 s[14:15], s[2:3], 2
	v_mul_lo_u32 v2, v0, s9
	s_mul_i32 s8, s9, s18
	s_lshl_b64 s[10:11], s[20:21], 2
	s_mov_b64 s[12:13], 0
	v_mov_b32_e32 v1, s7
	v_cmp_ne_u32_e64 s[0:1], 1, v3
	v_mov_b32_e32 v8, 0
	v_mov_b32_e32 v9, s15
	s_branch .LBB6_31
.LBB6_30:                               ;   in Loop: Header=BB6_31 Depth=1
	v_add_co_u32_e32 v4, vcc, s14, v4
	v_addc_co_u32_e32 v5, vcc, v5, v9, vcc
	v_add_u32_e32 v0, s18, v0
	v_cmp_le_i32_e32 vcc, s22, v0
	s_or_b64 s[12:13], vcc, s[12:13]
	v_add_u32_e32 v2, s8, v2
	s_waitcnt vmcnt(0) lgkmcnt(0)
	flat_store_dword v[4:5], v10
	s_andn2_b64 exec, exec, s[12:13]
	s_cbranch_execz .LBB6_34
.LBB6_31:                               ; =>This Loop Header: Depth=1
                                        ;     Child Loop BB6_33 Depth 2
	v_mul_lo_u32 v4, v0, s9
	v_ashrrev_i32_e32 v5, 31, v4
	v_lshlrev_b64 v[4:5], 2, v[4:5]
	v_add_co_u32_e32 v4, vcc, s6, v4
	v_addc_co_u32_e32 v5, vcc, v1, v5, vcc
	flat_load_dword v10, v[4:5]
	s_and_b64 vcc, exec, s[0:1]
	s_cbranch_vccnz .LBB6_30
; %bb.32:                               ;   in Loop: Header=BB6_31 Depth=1
	v_ashrrev_i32_e32 v3, 31, v2
	v_lshlrev_b64 v[6:7], 2, v[2:3]
	v_add_co_u32_e32 v6, vcc, s6, v6
	v_addc_co_u32_e32 v7, vcc, v1, v7, vcc
	s_mov_b32 s3, s2
	s_mov_b64 s[16:17], s[4:5]
.LBB6_33:                               ;   Parent Loop BB6_31 Depth=1
                                        ; =>  This Inner Loop Header: Depth=2
	s_add_u32 s20, s16, s10
	s_addc_u32 s21, s17, s11
	flat_load_dword v3, v[6:7] offset:4
	global_load_dword v11, v8, s[16:17]
	global_load_dword v14, v8, s[20:21]
	v_add_co_u32_e32 v12, vcc, 4, v6
	s_add_u32 s16, s16, 4
	v_addc_co_u32_e32 v13, vcc, 0, v7, vcc
	s_addc_u32 s17, s17, 0
	s_add_i32 s3, s3, -1
	s_cmp_lg_u32 s3, 0
	s_waitcnt vmcnt(0) lgkmcnt(0)
	v_mul_f32_e32 v15, v3, v14
	v_fma_f32 v15, v10, v11, -v15
	v_mul_f32_e32 v10, v10, v14
	flat_store_dword v[6:7], v15
	v_fmac_f32_e32 v10, v3, v11
	v_pk_mov_b32 v[6:7], v[12:13], v[12:13] op_sel:[0,1]
	s_cbranch_scc1 .LBB6_33
	s_branch .LBB6_30
.LBB6_34:
	s_endpgm
	.section	.rodata,"a",@progbits
	.p2align	6, 0x0
	.amdhsa_kernel _ZN9rocsolver6v33100L17bdsqr_lower2upperIffPfS2_EEviiiPT0_lS4_lT1_iilT2_iilPiS4_lS7_
		.amdhsa_group_segment_fixed_size 0
		.amdhsa_private_segment_fixed_size 0
		.amdhsa_kernarg_size 384
		.amdhsa_user_sgpr_count 6
		.amdhsa_user_sgpr_private_segment_buffer 1
		.amdhsa_user_sgpr_dispatch_ptr 0
		.amdhsa_user_sgpr_queue_ptr 0
		.amdhsa_user_sgpr_kernarg_segment_ptr 1
		.amdhsa_user_sgpr_dispatch_id 0
		.amdhsa_user_sgpr_flat_scratch_init 0
		.amdhsa_user_sgpr_kernarg_preload_length 0
		.amdhsa_user_sgpr_kernarg_preload_offset 0
		.amdhsa_user_sgpr_private_segment_size 0
		.amdhsa_uses_dynamic_stack 0
		.amdhsa_system_sgpr_private_segment_wavefront_offset 0
		.amdhsa_system_sgpr_workgroup_id_x 1
		.amdhsa_system_sgpr_workgroup_id_y 1
		.amdhsa_system_sgpr_workgroup_id_z 0
		.amdhsa_system_sgpr_workgroup_info 0
		.amdhsa_system_vgpr_workitem_id 0
		.amdhsa_next_free_vgpr 16
		.amdhsa_next_free_sgpr 36
		.amdhsa_accum_offset 16
		.amdhsa_reserve_vcc 1
		.amdhsa_reserve_flat_scratch 0
		.amdhsa_float_round_mode_32 0
		.amdhsa_float_round_mode_16_64 0
		.amdhsa_float_denorm_mode_32 3
		.amdhsa_float_denorm_mode_16_64 3
		.amdhsa_dx10_clamp 1
		.amdhsa_ieee_mode 1
		.amdhsa_fp16_overflow 0
		.amdhsa_tg_split 0
		.amdhsa_exception_fp_ieee_invalid_op 0
		.amdhsa_exception_fp_denorm_src 0
		.amdhsa_exception_fp_ieee_div_zero 0
		.amdhsa_exception_fp_ieee_overflow 0
		.amdhsa_exception_fp_ieee_underflow 0
		.amdhsa_exception_fp_ieee_inexact 0
		.amdhsa_exception_int_div_zero 0
	.end_amdhsa_kernel
	.section	.text._ZN9rocsolver6v33100L17bdsqr_lower2upperIffPfS2_EEviiiPT0_lS4_lT1_iilT2_iilPiS4_lS7_,"axG",@progbits,_ZN9rocsolver6v33100L17bdsqr_lower2upperIffPfS2_EEviiiPT0_lS4_lT1_iilT2_iilPiS4_lS7_,comdat
.Lfunc_end6:
	.size	_ZN9rocsolver6v33100L17bdsqr_lower2upperIffPfS2_EEviiiPT0_lS4_lT1_iilT2_iilPiS4_lS7_, .Lfunc_end6-_ZN9rocsolver6v33100L17bdsqr_lower2upperIffPfS2_EEviiiPT0_lS4_lT1_iilT2_iilPiS4_lS7_
                                        ; -- End function
	.section	.AMDGPU.csdata,"",@progbits
; Kernel info:
; codeLenInByte = 1948
; NumSgprs: 40
; NumVgprs: 16
; NumAgprs: 0
; TotalNumVgprs: 16
; ScratchSize: 0
; MemoryBound: 0
; FloatMode: 240
; IeeeMode: 1
; LDSByteSize: 0 bytes/workgroup (compile time only)
; SGPRBlocks: 4
; VGPRBlocks: 1
; NumSGPRsForWavesPerEU: 40
; NumVGPRsForWavesPerEU: 16
; AccumOffset: 16
; Occupancy: 8
; WaveLimiterHint : 0
; COMPUTE_PGM_RSRC2:SCRATCH_EN: 0
; COMPUTE_PGM_RSRC2:USER_SGPR: 6
; COMPUTE_PGM_RSRC2:TRAP_HANDLER: 0
; COMPUTE_PGM_RSRC2:TGID_X_EN: 1
; COMPUTE_PGM_RSRC2:TGID_Y_EN: 1
; COMPUTE_PGM_RSRC2:TGID_Z_EN: 0
; COMPUTE_PGM_RSRC2:TIDIG_COMP_CNT: 0
; COMPUTE_PGM_RSRC3_GFX90A:ACCUM_OFFSET: 3
; COMPUTE_PGM_RSRC3_GFX90A:TG_SPLIT: 0
	.section	.text._ZN9rocsolver6v33100L13bdsqr_computeILi256EffPfS2_S2_EEviiiiPT1_lS4_lT2_iilT3_iilT4_iiliS3_S3_S3_S3_PiS4_ilS8_,"axG",@progbits,_ZN9rocsolver6v33100L13bdsqr_computeILi256EffPfS2_S2_EEviiiiPT1_lS4_lT2_iilT3_iilT4_iiliS3_S3_S3_S3_PiS4_ilS8_,comdat
	.globl	_ZN9rocsolver6v33100L13bdsqr_computeILi256EffPfS2_S2_EEviiiiPT1_lS4_lT2_iilT3_iilT4_iiliS3_S3_S3_S3_PiS4_ilS8_ ; -- Begin function _ZN9rocsolver6v33100L13bdsqr_computeILi256EffPfS2_S2_EEviiiiPT1_lS4_lT2_iilT3_iilT4_iiliS3_S3_S3_S3_PiS4_ilS8_
	.p2align	8
	.type	_ZN9rocsolver6v33100L13bdsqr_computeILi256EffPfS2_S2_EEviiiiPT1_lS4_lT2_iilT3_iilT4_iiliS3_S3_S3_S3_PiS4_ilS8_,@function
_ZN9rocsolver6v33100L13bdsqr_computeILi256EffPfS2_S2_EEviiiiPT1_lS4_lT2_iilT3_iilT4_iiliS3_S3_S3_S3_PiS4_ilS8_: ; @_ZN9rocsolver6v33100L13bdsqr_computeILi256EffPfS2_S2_EEviiiiPT1_lS4_lT2_iilT3_iilT4_iiliS3_S3_S3_S3_PiS4_ilS8_
; %bb.0:
	s_load_dwordx4 s[0:3], s[4:5], 0xa8
	s_ashr_i32 s9, s8, 31
	s_lshl_b64 s[10:11], s[8:9], 2
	s_waitcnt lgkmcnt(0)
	s_add_u32 s2, s2, s10
	s_addc_u32 s3, s3, s11
	s_load_dword s2, s[2:3], 0x8
	s_waitcnt lgkmcnt(0)
	s_cmp_lg_u32 s2, 0
	s_cbranch_scc1 .LBB7_179
; %bb.1:
	s_load_dwordx8 s[20:27], s[4:5], 0x30
	s_mov_b64 s[34:35], 0
	s_mov_b64 s[40:41], 0
	s_waitcnt lgkmcnt(0)
	s_cmp_eq_u64 s[20:21], 0
	s_cbranch_scc1 .LBB7_3
; %bb.2:
	s_mul_i32 s6, s8, s25
	s_mul_hi_u32 s10, s8, s24
	s_add_i32 s6, s10, s6
	s_mul_i32 s10, s9, s24
	s_add_i32 s11, s6, s10
	s_mul_i32 s10, s8, s24
	s_ashr_i32 s3, s22, 31
	s_lshl_b64 s[10:11], s[10:11], 2
	s_mov_b32 s2, s22
	s_add_u32 s6, s20, s10
	s_addc_u32 s10, s21, s11
	s_lshl_b64 s[2:3], s[2:3], 2
	s_add_u32 s40, s6, s2
	s_addc_u32 s41, s10, s3
.LBB7_3:
	s_load_dwordx2 s[82:83], s[4:5], 0x50
	s_load_dwordx4 s[12:15], s[4:5], 0x58
	s_cmp_eq_u64 s[26:27], 0
	s_cbranch_scc1 .LBB7_5
; %bb.4:
	s_waitcnt lgkmcnt(0)
	s_mul_i32 s6, s8, s13
	s_mul_hi_u32 s10, s8, s12
	s_add_i32 s6, s10, s6
	s_mul_i32 s10, s9, s12
	s_add_i32 s11, s6, s10
	s_mul_i32 s10, s8, s12
	s_ashr_i32 s3, s82, 31
	s_lshl_b64 s[10:11], s[10:11], 2
	s_mov_b32 s2, s82
	s_add_u32 s6, s26, s10
	s_addc_u32 s10, s27, s11
	s_lshl_b64 s[2:3], s[2:3], 2
	s_add_u32 s34, s6, s2
	s_addc_u32 s35, s10, s3
.LBB7_5:
	s_load_dwordx2 s[42:43], s[4:5], 0x68
	s_waitcnt lgkmcnt(0)
	s_cmp_eq_u64 s[14:15], 0
	s_mov_b64 s[44:45], 0
	s_cbranch_scc1 .LBB7_7
; %bb.6:
	s_load_dwordx2 s[2:3], s[4:5], 0x70
	s_ashr_i32 s11, s42, 31
	s_mov_b32 s10, s42
	s_waitcnt lgkmcnt(0)
	s_mul_i32 s3, s8, s3
	s_mul_hi_u32 s6, s8, s2
	s_mul_i32 s12, s9, s2
	s_add_i32 s3, s6, s3
	s_add_i32 s3, s3, s12
	s_mul_i32 s2, s8, s2
	s_lshl_b64 s[2:3], s[2:3], 2
	s_add_u32 s6, s14, s2
	s_addc_u32 s12, s15, s3
	s_lshl_b64 s[2:3], s[10:11], 2
	s_add_u32 s44, s6, s2
	s_addc_u32 s45, s12, s3
.LBB7_7:
	s_load_dwordx4 s[12:15], s[4:5], 0x90
	s_mul_i32 s1, s8, s1
	s_mul_hi_u32 s2, s8, s0
	s_add_i32 s1, s2, s1
	s_mul_i32 s2, s9, s0
	s_add_i32 s1, s1, s2
	s_mul_i32 s0, s8, s0
	s_lshl_b64 s[60:61], s[0:1], 2
	s_waitcnt lgkmcnt(0)
	s_add_u32 s46, s14, s60
	s_addc_u32 s47, s15, s61
	s_load_dword s0, s[46:47], 0x8
	s_waitcnt lgkmcnt(0)
	v_cvt_i32_f32_e32 v1, s0
	v_cmp_ge_i32_e32 vcc, s7, v1
	s_cbranch_vccnz .LBB7_179
; %bb.8:
	s_load_dwordx4 s[36:39], s[4:5], 0x0
	s_load_dwordx8 s[24:31], s[4:5], 0x10
                                        ; implicit-def: $vgpr31 : SGPR spill to VGPR lane
	s_load_dwordx2 s[56:57], s[4:5], 0x78
	s_load_dwordx2 s[58:59], s[4:5], 0x84
	s_load_dword s82, s[4:5], 0xa0
	s_load_dword s18, s[4:5], 0xbc
	v_lshlrev_b32_e32 v8, 2, v0
	v_mul_lo_u32 v14, v0, s23
	s_waitcnt lgkmcnt(0)
	s_mul_i32 s0, s8, s36
	s_lshl_b32 s0, s0, 1
	s_ashr_i32 s1, s0, 31
	s_lshl_b64 s[0:1], s[0:1], 2
	s_mul_i32 s2, s8, s27
	s_mul_hi_u32 s3, s8, s26
	s_add_u32 s6, s12, s0
	s_addc_u32 s20, s13, s1
	s_add_i32 s0, s3, s2
	s_mul_i32 s1, s9, s26
	s_add_i32 s1, s0, s1
	s_mul_i32 s0, s8, s26
	s_lshl_b64 s[0:1], s[0:1], 2
	s_add_u32 s22, s24, s0
	s_addc_u32 s33, s25, s1
	s_mul_i32 s0, s8, s31
	s_mul_hi_u32 s1, s8, s30
	s_add_i32 s0, s1, s0
	s_mul_i32 s1, s9, s30
	s_add_i32 s1, s0, s1
	s_mul_i32 s0, s8, s30
	v_writelane_b32 v31, s0, 0
	s_lshl_b64 s[10:11], s[0:1], 2
	s_add_u32 s36, s28, s10
	s_addc_u32 s42, s29, s11
	s_cmp_lg_u32 s37, 0
	s_cselect_b64 s[26:27], -1, 0
	s_or_b32 s8, s39, s38
	s_cmp_eq_u32 s8, 0
	v_writelane_b32 v31, s1, 1
	s_cselect_b64 s[8:9], -1, 0
	v_writelane_b32 v31, s8, 2
	s_cmp_lg_u64 s[40:41], 0
	v_writelane_b32 v31, s9, 3
	s_cselect_b64 s[8:9], -1, 0
	s_and_b64 s[88:89], s[26:27], s[8:9]
	s_add_u32 s8, s4, 0xb8
	s_addc_u32 s9, s5, 0
	v_writelane_b32 v31, s8, 4
	s_cmp_lg_u64 s[34:35], 0
	v_writelane_b32 v31, s9, 5
	s_cselect_b64 s[8:9], -1, 0
	s_cmp_lg_u32 s38, 0
	s_cselect_b64 s[12:13], -1, 0
	s_and_b64 s[92:93], s[12:13], s[8:9]
	v_cmp_gt_i32_e64 s[8:9], s38, v0
	v_writelane_b32 v31, s8, 6
	s_cmp_lg_u64 s[44:45], 0
	v_writelane_b32 v31, s9, 7
	s_cselect_b64 s[8:9], -1, 0
	s_cmp_lg_u32 s39, 0
	s_cselect_b64 s[12:13], -1, 0
	s_and_b64 s[50:51], s[12:13], s[8:9]
	v_cmp_gt_i32_e64 s[8:9], s39, v0
	v_writelane_b32 v31, s8, 8
	s_add_u32 s19, s14, s60
	v_writelane_b32 v31, s9, 9
	s_addc_u32 s8, s15, s61
	s_add_u32 s4, s19, 12
	v_writelane_b32 v31, s4, 10
	s_addc_u32 s4, s8, 0
	v_writelane_b32 v31, s4, 11
	s_add_u32 s4, s28, -4
	s_addc_u32 s5, s29, -1
	v_writelane_b32 v31, s4, 12
	s_add_u32 s4, s4, s10
	v_writelane_b32 v31, s4, 13
	v_writelane_b32 v31, s5, 14
	s_addc_u32 s4, s5, s11
	v_mov_b32_e32 v2, s33
	v_add_co_u32_e32 v10, vcc, s22, v8
	v_writelane_b32 v31, s4, 15
	s_add_u32 s4, s22, -4
	v_addc_co_u32_e32 v11, vcc, 0, v2, vcc
	v_writelane_b32 v31, s4, 16
	s_addc_u32 s4, s33, -1
	s_movk_i32 s0, 0x80
	v_mov_b32_e32 v2, s42
	v_add_co_u32_e32 v12, vcc, s36, v8
	v_writelane_b32 v31, s4, 17
	s_add_u32 s4, s19, 20
	v_mul_lo_u32 v16, v0, s43
	v_cmp_gt_u32_e64 s[0:1], s0, v0
	v_cmp_gt_u32_e64 s[2:3], 64, v0
	v_cmp_eq_u32_e64 s[16:17], 0, v0
	v_cmp_gt_i32_e64 s[90:91], s37, v0
	v_mov_b32_e32 v9, 0
	v_addc_co_u32_e32 v13, vcc, 0, v2, vcc
	v_writelane_b32 v31, s4, 18
	s_addc_u32 s4, s8, 0
	v_add_u32_e32 v15, -1, v14
	v_add_u32_e32 v17, -1, v16
	s_mov_b32 s10, 0xf800000
	v_mov_b32_e32 v18, 0x260
	v_mov_b32_e32 v19, 1
	v_writelane_b32 v31, s4, 19
	s_branch .LBB7_11
.LBB7_9:                                ;   in Loop: Header=BB7_11 Depth=1
	s_or_b64 exec, exec, s[12:13]
.LBB7_10:                               ;   in Loop: Header=BB7_11 Depth=1
	s_add_i32 s7, s18, s7
	v_cmp_lt_i32_e32 vcc, s7, v1
	s_cbranch_vccz .LBB7_179
.LBB7_11:                               ; =>This Loop Header: Depth=1
                                        ;     Child Loop BB7_15 Depth 2
                                        ;     Child Loop BB7_40 Depth 2
	;; [unrolled: 1-line block ×5, first 2 shown]
                                        ;       Child Loop BB7_164 Depth 3
                                        ;     Child Loop BB7_169 Depth 2
                                        ;       Child Loop BB7_171 Depth 3
                                        ;     Child Loop BB7_176 Depth 2
                                        ;       Child Loop BB7_178 Depth 3
	s_lshl_b32 s4, s7, 2
	s_ashr_i32 s5, s4, 31
	s_lshl_b64 s[4:5], s[4:5], 2
	s_add_u32 s12, s6, s4
	s_addc_u32 s13, s20, s5
	global_load_dwordx2 v[2:3], v9, s[12:13] offset:4
	s_waitcnt vmcnt(0)
	v_readfirstlane_b32 s62, v2
	v_readfirstlane_b32 s60, v3
	s_cmp_le_i32 s60, s62
	s_cbranch_scc1 .LBB7_10
; %bb.12:                               ;   in Loop: Header=BB7_11 Depth=1
	global_load_dword v2, v9, s[12:13] offset:12
	s_waitcnt vmcnt(0)
	v_cmp_le_i32_e32 vcc, s56, v2
	s_cbranch_vccnz .LBB7_10
; %bb.13:                               ;   in Loop: Header=BB7_11 Depth=1
	s_sub_i32 s28, s60, s62
	s_ashr_i32 s63, s62, 31
	v_cmp_ge_i32_e32 vcc, s28, v0
	v_mov_b32_e32 v4, 0
	s_and_saveexec_b64 s[4:5], vcc
	s_cbranch_execz .LBB7_17
; %bb.14:                               ;   in Loop: Header=BB7_11 Depth=1
	s_lshl_b64 s[14:15], s[62:63], 2
	v_mov_b32_e32 v3, s15
	v_add_co_u32_e32 v2, vcc, s14, v10
	v_addc_co_u32_e32 v3, vcc, v11, v3, vcc
	s_mov_b64 s[14:15], 0
	v_mov_b32_e32 v4, 0
	v_mov_b32_e32 v5, v0
.LBB7_15:                               ;   Parent Loop BB7_11 Depth=1
                                        ; =>  This Inner Loop Header: Depth=2
	global_load_dword v6, v[2:3], off
	v_add_co_u32_e32 v2, vcc, 0x400, v2
	v_add_u32_e32 v5, 0x100, v5
	v_addc_co_u32_e32 v3, vcc, 0, v3, vcc
	v_cmp_lt_i32_e32 vcc, s28, v5
	s_or_b64 s[14:15], vcc, s[14:15]
	s_waitcnt vmcnt(0)
	v_cmp_lt_f32_e64 s[24:25], v4, |v6|
	v_cndmask_b32_e64 v4, v4, |v6|, s[24:25]
	s_andn2_b64 exec, exec, s[14:15]
	s_cbranch_execnz .LBB7_15
; %bb.16:                               ;   in Loop: Header=BB7_11 Depth=1
	s_or_b64 exec, exec, s[14:15]
.LBB7_17:                               ;   in Loop: Header=BB7_11 Depth=1
	s_or_b64 exec, exec, s[4:5]
	s_cmp_lt_i32 s28, 1
	ds_write_b32 v8, v4
	s_waitcnt lgkmcnt(0)
	s_barrier
	s_cbranch_scc1 .LBB7_38
; %bb.18:                               ;   in Loop: Header=BB7_11 Depth=1
	s_and_saveexec_b64 s[4:5], s[0:1]
	s_cbranch_execz .LBB7_22
; %bb.19:                               ;   in Loop: Header=BB7_11 Depth=1
	ds_read_b32 v2, v8 offset:512
	s_waitcnt lgkmcnt(0)
	v_cmp_lt_f32_e32 vcc, v4, v2
	s_and_saveexec_b64 s[14:15], vcc
	s_cbranch_execz .LBB7_21
; %bb.20:                               ;   in Loop: Header=BB7_11 Depth=1
	v_mov_b32_e32 v4, v2
	ds_write_b32 v8, v2
.LBB7_21:                               ;   in Loop: Header=BB7_11 Depth=1
	s_or_b64 exec, exec, s[14:15]
.LBB7_22:                               ;   in Loop: Header=BB7_11 Depth=1
	s_or_b64 exec, exec, s[4:5]
	s_waitcnt lgkmcnt(0)
	s_barrier
	s_and_saveexec_b64 s[4:5], s[2:3]
	s_cbranch_execz .LBB7_37
; %bb.23:                               ;   in Loop: Header=BB7_11 Depth=1
	ds_read_b32 v2, v8 offset:256
	s_waitcnt lgkmcnt(0)
	v_cmp_lt_f32_e32 vcc, v4, v2
	s_and_saveexec_b64 s[14:15], vcc
	s_cbranch_execz .LBB7_25
; %bb.24:                               ;   in Loop: Header=BB7_11 Depth=1
	v_mov_b32_e32 v4, v2
	ds_write_b32 v8, v2
.LBB7_25:                               ;   in Loop: Header=BB7_11 Depth=1
	s_or_b64 exec, exec, s[14:15]
	ds_read_b32 v2, v8 offset:128
	s_waitcnt lgkmcnt(0)
	v_cmp_lt_f32_e32 vcc, v4, v2
	s_and_saveexec_b64 s[14:15], vcc
	s_cbranch_execz .LBB7_27
; %bb.26:                               ;   in Loop: Header=BB7_11 Depth=1
	v_mov_b32_e32 v4, v2
	ds_write_b32 v8, v2
.LBB7_27:                               ;   in Loop: Header=BB7_11 Depth=1
	s_or_b64 exec, exec, s[14:15]
	;; [unrolled: 10-line block ×6, first 2 shown]
	ds_read_b32 v2, v8 offset:4
	s_waitcnt lgkmcnt(0)
	v_cmp_lt_f32_e32 vcc, v4, v2
	s_and_b64 exec, exec, vcc
	s_cbranch_execz .LBB7_37
; %bb.36:                               ;   in Loop: Header=BB7_11 Depth=1
	ds_write_b32 v8, v2
.LBB7_37:                               ;   in Loop: Header=BB7_11 Depth=1
	s_or_b64 exec, exec, s[4:5]
.LBB7_38:                               ;   in Loop: Header=BB7_11 Depth=1
	v_cmp_gt_i32_e32 vcc, s28, v0
	v_mov_b32_e32 v4, 0
	s_waitcnt lgkmcnt(0)
	s_barrier
	s_and_saveexec_b64 s[4:5], vcc
	s_cbranch_execz .LBB7_42
; %bb.39:                               ;   in Loop: Header=BB7_11 Depth=1
	s_lshl_b64 s[14:15], s[62:63], 2
	v_mov_b32_e32 v3, s15
	v_add_co_u32_e32 v2, vcc, s14, v12
	v_addc_co_u32_e32 v3, vcc, v13, v3, vcc
	s_mov_b64 s[14:15], 0
	v_mov_b32_e32 v4, 0
	v_mov_b32_e32 v5, v0
.LBB7_40:                               ;   Parent Loop BB7_11 Depth=1
                                        ; =>  This Inner Loop Header: Depth=2
	global_load_dword v6, v[2:3], off
	v_add_co_u32_e32 v2, vcc, 0x400, v2
	v_add_u32_e32 v5, 0x100, v5
	v_addc_co_u32_e32 v3, vcc, 0, v3, vcc
	v_cmp_le_i32_e32 vcc, s28, v5
	s_or_b64 s[14:15], vcc, s[14:15]
	s_waitcnt vmcnt(0)
	v_cmp_lt_f32_e64 s[24:25], v4, |v6|
	v_cndmask_b32_e64 v4, v4, |v6|, s[24:25]
	s_andn2_b64 exec, exec, s[14:15]
	s_cbranch_execnz .LBB7_40
; %bb.41:                               ;   in Loop: Header=BB7_11 Depth=1
	s_or_b64 exec, exec, s[14:15]
.LBB7_42:                               ;   in Loop: Header=BB7_11 Depth=1
	s_or_b64 exec, exec, s[4:5]
	s_cmp_lt_i32 s28, 2
	ds_write_b32 v8, v4 offset:4
	s_waitcnt lgkmcnt(0)
	s_barrier
	s_cbranch_scc1 .LBB7_63
; %bb.43:                               ;   in Loop: Header=BB7_11 Depth=1
	s_and_saveexec_b64 s[4:5], s[0:1]
	s_cbranch_execz .LBB7_47
; %bb.44:                               ;   in Loop: Header=BB7_11 Depth=1
	ds_read_b32 v2, v8 offset:516
	s_waitcnt lgkmcnt(0)
	v_cmp_lt_f32_e32 vcc, v4, v2
	s_and_saveexec_b64 s[14:15], vcc
	s_cbranch_execz .LBB7_46
; %bb.45:                               ;   in Loop: Header=BB7_11 Depth=1
	v_mov_b32_e32 v4, v2
	ds_write_b32 v8, v2 offset:4
.LBB7_46:                               ;   in Loop: Header=BB7_11 Depth=1
	s_or_b64 exec, exec, s[14:15]
.LBB7_47:                               ;   in Loop: Header=BB7_11 Depth=1
	s_or_b64 exec, exec, s[4:5]
	s_waitcnt lgkmcnt(0)
	s_barrier
	s_and_saveexec_b64 s[4:5], s[2:3]
	s_cbranch_execz .LBB7_62
; %bb.48:                               ;   in Loop: Header=BB7_11 Depth=1
	ds_read_b32 v2, v8 offset:260
	s_waitcnt lgkmcnt(0)
	v_cmp_lt_f32_e32 vcc, v4, v2
	s_and_saveexec_b64 s[14:15], vcc
	s_cbranch_execz .LBB7_50
; %bb.49:                               ;   in Loop: Header=BB7_11 Depth=1
	v_mov_b32_e32 v4, v2
	ds_write_b32 v8, v2 offset:4
.LBB7_50:                               ;   in Loop: Header=BB7_11 Depth=1
	s_or_b64 exec, exec, s[14:15]
	ds_read_b32 v2, v8 offset:132
	s_waitcnt lgkmcnt(0)
	v_cmp_lt_f32_e32 vcc, v4, v2
	s_and_saveexec_b64 s[14:15], vcc
	s_cbranch_execz .LBB7_52
; %bb.51:                               ;   in Loop: Header=BB7_11 Depth=1
	v_mov_b32_e32 v4, v2
	ds_write_b32 v8, v2 offset:4
.LBB7_52:                               ;   in Loop: Header=BB7_11 Depth=1
	s_or_b64 exec, exec, s[14:15]
	;; [unrolled: 10-line block ×6, first 2 shown]
	ds_read_b32 v2, v8 offset:8
	s_waitcnt lgkmcnt(0)
	v_cmp_lt_f32_e32 vcc, v4, v2
	s_and_b64 exec, exec, vcc
	s_cbranch_execz .LBB7_62
; %bb.61:                               ;   in Loop: Header=BB7_11 Depth=1
	ds_write_b32 v8, v2 offset:4
.LBB7_62:                               ;   in Loop: Header=BB7_11 Depth=1
	s_or_b64 exec, exec, s[4:5]
.LBB7_63:                               ;   in Loop: Header=BB7_11 Depth=1
	s_lshl_b64 s[64:65], s[62:63], 2
	s_add_u32 s11, s36, s64
	s_addc_u32 s9, s42, s65
	s_add_u32 s14, s22, s64
	s_addc_u32 s15, s33, s65
	s_waitcnt lgkmcnt(0)
	s_barrier
	s_and_saveexec_b64 s[66:67], s[16:17]
	s_cbranch_execz .LBB7_78
; %bb.64:                               ;   in Loop: Header=BB7_11 Depth=1
	s_ashr_i32 s61, s60, 31
	s_lshl_b64 s[4:5], s[60:61], 2
	s_add_u32 s4, s22, s4
	s_addc_u32 s5, s33, s5
	global_load_dword v3, v9, s[14:15]
	global_load_dword v4, v9, s[4:5]
	s_ashr_i32 s29, s28, 31
	s_lshl_b64 s[4:5], s[28:29], 2
	s_add_u32 s21, s14, s4
	s_addc_u32 s29, s15, s5
	s_waitcnt vmcnt(0)
	v_cmp_ge_f32_e64 s[4:5], |v3|, |v4|
	s_and_b64 s[24:25], s[4:5], exec
	s_cselect_b32 s25, s15, s29
	s_cselect_b32 s24, s14, s21
	global_load_dword v5, v9, s[24:25]
	v_cndmask_b32_e64 v2, 0, 1, s[4:5]
	ds_write_b32 v9, v2 offset:1028
	s_cmp_lt_i32 s28, 1
	s_waitcnt vmcnt(0)
	v_and_b32_e32 v2, 0x7fffffff, v5
	s_cbranch_scc1 .LBB7_71
; %bb.65:                               ;   in Loop: Header=BB7_11 Depth=1
	s_not_b32 s21, s62
	s_add_i32 s21, s21, s60
	s_mov_b32 s24, 0
	v_mov_b32_e32 v5, v2
	s_branch .LBB7_67
.LBB7_66:                               ;   in Loop: Header=BB7_67 Depth=2
	s_add_i32 s24, s24, 1
	s_and_b64 s[48:49], s[4:5], exec
	s_cselect_b32 s48, s24, s21
	s_ashr_i32 s49, s48, 31
	s_lshl_b64 s[48:49], s[48:49], 2
	s_add_u32 s48, s14, s48
	s_addc_u32 s49, s15, s49
	global_load_dword v7, v9, s[48:49]
	v_add_f32_e64 v6, v5, |v6|
	v_div_scale_f32 v20, s[48:49], v6, v6, v5
	v_rcp_f32_e32 v21, v20
	v_div_scale_f32 v22, vcc, v5, v6, v5
	s_add_i32 s21, s21, -1
	v_fma_f32 v23, -v20, v21, 1.0
	v_fmac_f32_e32 v21, v23, v21
	v_mul_f32_e32 v23, v22, v21
	v_fma_f32 v24, -v20, v23, v22
	v_fmac_f32_e32 v23, v24, v21
	v_fma_f32 v20, -v20, v23, v22
	v_div_fmas_f32 v20, v20, v21, v23
	v_div_fixup_f32 v5, v20, v6, v5
	s_cmp_eq_u32 s21, -1
	s_mov_b64 s[68:69], 0
	s_cselect_b64 s[70:71], -1, 0
	s_waitcnt vmcnt(0)
	v_mul_f32_e64 v5, v5, |v7|
	v_cmp_lt_f32_e32 vcc, v5, v2
	v_cndmask_b32_e32 v2, v2, v5, vcc
	s_andn2_b64 vcc, exec, s[70:71]
	s_cbranch_vccz .LBB7_69
.LBB7_67:                               ;   Parent Loop BB7_11 Depth=1
                                        ; =>  This Inner Loop Header: Depth=2
	s_and_b64 s[30:31], s[4:5], exec
	s_cselect_b32 s30, s24, s21
	s_ashr_i32 s31, s30, 31
	s_lshl_b64 s[30:31], s[30:31], 2
	s_add_u32 s30, s11, s30
	s_addc_u32 s31, s9, s31
	global_load_dword v6, v9, s[30:31]
	v_mul_f32_e32 v7, s58, v5
	s_waitcnt vmcnt(0)
	v_cmp_nle_f32_e64 s[48:49], |v6|, v7
	s_and_b64 vcc, exec, s[48:49]
	s_cbranch_vccnz .LBB7_66
; %bb.68:                               ;   in Loop: Header=BB7_11 Depth=1
	s_mov_b64 s[68:69], -1
                                        ; implicit-def: $vgpr5
                                        ; implicit-def: $sgpr21
                                        ; implicit-def: $sgpr24
                                        ; implicit-def: $vgpr2
.LBB7_69:                               ;   in Loop: Header=BB7_11 Depth=1
	s_and_b64 vcc, exec, s[68:69]
	s_cbranch_vccz .LBB7_71
; %bb.70:                               ;   in Loop: Header=BB7_11 Depth=1
	v_mov_b32_e32 v2, -1.0
	global_store_dword v9, v9, s[30:31]
.LBB7_71:                               ;   in Loop: Header=BB7_11 Depth=1
	v_cmp_nle_f32_e32 vcc, 0, v2
	v_and_b32_e32 v3, 0x7fffffff, v3
	v_and_b32_e32 v4, 0x7fffffff, v4
	ds_write_b32 v9, v2 offset:1032
	ds_write_b8 v9, v9 offset:1036
	s_cbranch_vccnz .LBB7_78
; %bb.72:                               ;   in Loop: Header=BB7_11 Depth=1
	ds_read_b64 v[6:7], v9
	s_mov_b64 s[30:31], -1
	s_waitcnt lgkmcnt(0)
	v_cmp_lt_f32_e32 vcc, v6, v7
	v_cndmask_b32_e32 v5, v6, v7, vcc
	v_div_scale_f32 v6, s[24:25], v5, v5, v2
	v_rcp_f32_e32 v7, v6
	v_div_scale_f32 v20, vcc, v2, v5, v2
	v_fma_f32 v21, -v6, v7, 1.0
	v_fmac_f32_e32 v7, v21, v7
	v_mul_f32_e32 v21, v20, v7
	v_fma_f32 v22, -v6, v21, v20
	v_fmac_f32_e32 v21, v22, v7
	v_fma_f32 v6, -v6, v21, v20
	v_div_fmas_f32 v6, v6, v7, v21
	v_div_fixup_f32 v5, v6, v5, v2
	v_cmp_ge_f32_e32 vcc, s59, v5
	s_cbranch_vccnz .LBB7_75
; %bb.73:                               ;   in Loop: Header=BB7_11 Depth=1
	v_cndmask_b32_e64 v3, v4, v3, s[4:5]
	v_cmp_lt_f32_e32 vcc, 0, v3
	s_mov_b64 s[30:31], 0
	s_cbranch_vccz .LBB7_75
; %bb.74:                               ;   in Loop: Header=BB7_11 Depth=1
	v_mul_f32_e32 v2, v2, v2
	v_div_scale_f32 v4, s[4:5], v3, v3, v2
	v_rcp_f32_e32 v5, v4
	v_div_scale_f32 v6, vcc, v2, v3, v2
	v_fma_f32 v7, -v4, v5, 1.0
	v_fmac_f32_e32 v5, v7, v5
	v_mul_f32_e32 v7, v6, v5
	v_fma_f32 v20, -v4, v7, v6
	v_fmac_f32_e32 v7, v20, v5
	v_fma_f32 v4, -v4, v7, v6
	v_div_fmas_f32 v4, v4, v5, v7
	v_div_fixup_f32 v2, v4, v3, v2
	v_div_scale_f32 v4, s[4:5], v3, v3, v2
	v_rcp_f32_e32 v5, v4
	v_fma_f32 v6, -v4, v5, 1.0
	v_fmac_f32_e32 v5, v6, v5
	v_div_scale_f32 v6, vcc, v2, v3, v2
	v_mul_f32_e32 v7, v6, v5
	v_fma_f32 v20, -v4, v7, v6
	v_fmac_f32_e32 v7, v20, v5
	v_fma_f32 v4, -v4, v7, v6
	v_div_fmas_f32 v4, v4, v5, v7
	v_div_fixup_f32 v2, v4, v3, v2
	v_cmp_gt_f32_e64 s[30:31], s57, v2
.LBB7_75:                               ;   in Loop: Header=BB7_11 Depth=1
	s_and_b64 vcc, exec, s[30:31]
	s_cbranch_vccz .LBB7_77
; %bb.76:                               ;   in Loop: Header=BB7_11 Depth=1
	ds_write_b32 v9, v9 offset:1032
.LBB7_77:                               ;   in Loop: Header=BB7_11 Depth=1
	ds_write_b8 v9, v19 offset:1036
.LBB7_78:                               ;   in Loop: Header=BB7_11 Depth=1
	s_or_b64 exec, exec, s[66:67]
	s_waitcnt lgkmcnt(0)
	s_barrier
	ds_read_u8 v2, v9 offset:1036
	s_mov_b64 s[4:5], -1
	s_waitcnt lgkmcnt(0)
	v_cmp_eq_u32_e32 vcc, 0, v2
	s_cbranch_vccz .LBB7_82
; %bb.79:                               ;   in Loop: Header=BB7_11 Depth=1
	s_and_saveexec_b64 s[4:5], s[16:17]
	s_cbranch_execz .LBB7_81
; %bb.80:                               ;   in Loop: Header=BB7_11 Depth=1
	global_store_dword v9, v9, s[12:13]
.LBB7_81:                               ;   in Loop: Header=BB7_11 Depth=1
	s_or_b64 exec, exec, s[4:5]
	s_mov_b64 s[4:5], 0
.LBB7_82:                               ;   in Loop: Header=BB7_11 Depth=1
	s_andn2_b64 vcc, exec, s[4:5]
	s_cbranch_vccnz .LBB7_10
; %bb.83:                               ;   in Loop: Header=BB7_11 Depth=1
	ds_read_b32 v2, v9 offset:1028
	s_waitcnt lgkmcnt(0)
	v_readfirstlane_b32 s66, v2
	s_and_saveexec_b64 s[4:5], s[16:17]
	s_cbranch_execz .LBB7_85
; %bb.84:                               ;   in Loop: Header=BB7_11 Depth=1
	s_cmp_eq_u32 s66, 0
	s_cselect_b32 s21, -1, 1
	v_mov_b32_e32 v2, s21
	global_store_dword v9, v2, s[12:13]
.LBB7_85:                               ;   in Loop: Header=BB7_11 Depth=1
	s_or_b64 exec, exec, s[4:5]
	s_add_i32 s78, s28, 1
	s_mul_i32 s68, s62, s82
	s_sub_i32 s76, 1, s66
	s_ashr_i32 s69, s68, 31
	s_sub_i32 s70, s66, s76
	s_lshl_b32 s12, s78, 1
	s_and_b64 s[4:5], s[26:27], exec
	s_cselect_b32 s29, s12, 0
	s_and_saveexec_b64 s[72:73], s[16:17]
	s_cbranch_execz .LBB7_156
; %bb.86:                               ;   in Loop: Header=BB7_11 Depth=1
	s_cmp_lg_u32 s66, 0
	s_cselect_b64 s[74:75], -1, 0
	s_and_b64 s[4:5], s[74:75], exec
	s_cselect_b32 s84, 0, s28
	s_ashr_i32 s85, s84, 31
	s_lshl_b64 s[4:5], s[84:85], 2
	s_add_u32 s14, s14, s4
	s_addc_u32 s15, s15, s5
	global_load_dword v2, v9, s[14:15]
	v_mov_b32_e32 v3, 0
	s_waitcnt vmcnt(0)
	v_cmp_eq_f32_e32 vcc, 0, v2
	s_cbranch_vccnz .LBB7_88
; %bb.87:                               ;   in Loop: Header=BB7_11 Depth=1
	ds_read_b32 v3, v9 offset:1032
	v_cmp_lt_f32_e32 vcc, 0, v2
	v_cndmask_b32_e64 v4, 0, 1, vcc
	v_cmp_gt_f32_e32 vcc, 0, v2
	v_subbrev_co_u32_e32 v4, vcc, 0, v4, vcc
	s_waitcnt lgkmcnt(0)
	v_div_scale_f32 v5, s[4:5], v2, v2, v3
	v_rcp_f32_e32 v6, v5
	v_cvt_f32_i32_e32 v4, v4
	v_sub_f32_e64 v7, |v2|, v3
	v_fma_f32 v20, -v5, v6, 1.0
	v_fmac_f32_e32 v6, v20, v6
	v_div_scale_f32 v20, vcc, v3, v2, v3
	v_mul_f32_e32 v21, v20, v6
	v_fma_f32 v22, -v5, v21, v20
	v_fmac_f32_e32 v21, v22, v6
	v_fma_f32 v5, -v5, v21, v20
	v_div_fmas_f32 v5, v5, v6, v21
	v_div_fixup_f32 v3, v5, v2, v3
	v_add_f32_e32 v3, v3, v4
	v_mul_f32_e32 v3, v7, v3
.LBB7_88:                               ;   in Loop: Header=BB7_11 Depth=1
	s_cmp_gt_i32 s28, 0
	s_cbranch_scc1 .LBB7_90
; %bb.89:                               ;   in Loop: Header=BB7_11 Depth=1
	s_add_i32 s61, s28, -1
	s_cbranch_execz .LBB7_91
	s_branch .LBB7_155
.LBB7_90:                               ;   in Loop: Header=BB7_11 Depth=1
                                        ; implicit-def: $sgpr61
.LBB7_91:                               ;   in Loop: Header=BB7_11 Depth=1
	s_ashr_i32 s67, s66, 31
	s_sub_u32 s12, 0, s66
	s_subb_u32 s13, 0, s67
	s_add_u32 s80, s84, s66
	s_addc_u32 s81, s85, s67
	v_writelane_b32 v31, s82, 20
	s_mov_b32 s55, s83
	s_lshl_b64 s[82:83], s[80:81], 2
	s_add_u32 s86, s11, s82
	s_addc_u32 s87, s9, s83
	global_load_dword v4, v9, s[86:87] offset:-4
	v_writelane_b32 v31, s88, 21
	v_writelane_b32 v31, s89, 22
	v_mov_b32_e32 v5, 0
	v_writelane_b32 v31, s90, 23
	v_writelane_b32 v31, s91, 24
	s_waitcnt vmcnt(0)
	v_cmp_eq_f32_e32 vcc, 0, v4
	s_cbranch_vccnz .LBB7_95
; %bb.92:                               ;   in Loop: Header=BB7_11 Depth=1
	v_cmp_eq_f32_e32 vcc, 0, v3
	v_mov_b32_e32 v6, 0
	s_cbranch_vccnz .LBB7_96
; %bb.93:                               ;   in Loop: Header=BB7_11 Depth=1
	v_cmp_gt_f32_e64 s[4:5], |v4|, |v3|
	s_and_b64 vcc, exec, s[4:5]
	s_cbranch_vccnz .LBB7_97
; %bb.94:                               ;   in Loop: Header=BB7_11 Depth=1
	v_div_scale_f32 v5, s[4:5], v3, v3, -v4
	v_rcp_f32_e32 v6, v5
	v_div_scale_f32 v7, vcc, -v4, v3, -v4
	v_fma_f32 v20, -v5, v6, 1.0
	v_fmac_f32_e32 v6, v20, v6
	v_mul_f32_e32 v20, v7, v6
	v_fma_f32 v21, -v5, v20, v7
	v_fmac_f32_e32 v20, v21, v6
	v_fma_f32 v5, -v5, v20, v7
	v_div_fmas_f32 v5, v5, v6, v20
	v_div_fixup_f32 v5, v5, v3, -v4
	v_fma_f32 v6, v5, v5, 1.0
	v_mul_f32_e32 v7, 0x4f800000, v6
	v_cmp_gt_f32_e32 vcc, s10, v6
	v_cndmask_b32_e32 v6, v6, v7, vcc
	v_sqrt_f32_e32 v7, v6
	v_add_u32_e32 v20, -1, v7
	v_fma_f32 v21, -v20, v7, v6
	v_cmp_ge_f32_e64 s[4:5], 0, v21
	v_add_u32_e32 v21, 1, v7
	v_cndmask_b32_e64 v20, v7, v20, s[4:5]
	v_fma_f32 v7, -v21, v7, v6
	v_cmp_lt_f32_e64 s[4:5], 0, v7
	v_cndmask_b32_e64 v7, v20, v21, s[4:5]
	v_mul_f32_e32 v20, 0x37800000, v7
	v_cndmask_b32_e32 v7, v7, v20, vcc
	v_cmp_class_f32_e32 vcc, v6, v18
	v_cndmask_b32_e32 v6, v7, v6, vcc
	v_div_scale_f32 v7, s[4:5], v6, v6, 1.0
	v_rcp_f32_e32 v20, v7
	s_mov_b64 s[4:5], 0
	v_fma_f32 v21, -v7, v20, 1.0
	v_fmac_f32_e32 v20, v21, v20
	v_div_scale_f32 v21, vcc, 1.0, v6, 1.0
	v_mul_f32_e32 v22, v21, v20
	v_fma_f32 v23, -v7, v22, v21
	v_fmac_f32_e32 v22, v23, v20
	v_fma_f32 v7, -v7, v22, v21
	v_div_fmas_f32 v7, v7, v20, v22
	v_div_fixup_f32 v6, v7, v6, 1.0
	v_mul_f32_e32 v5, v5, v6
	s_branch .LBB7_98
.LBB7_95:                               ;   in Loop: Header=BB7_11 Depth=1
	v_mov_b32_e32 v6, 1.0
	s_branch .LBB7_100
.LBB7_96:                               ;   in Loop: Header=BB7_11 Depth=1
	v_mov_b32_e32 v5, 1.0
	s_branch .LBB7_100
.LBB7_97:                               ;   in Loop: Header=BB7_11 Depth=1
	s_mov_b64 s[4:5], -1
                                        ; implicit-def: $vgpr5
                                        ; implicit-def: $vgpr6
.LBB7_98:                               ;   in Loop: Header=BB7_11 Depth=1
	s_andn2_b64 vcc, exec, s[4:5]
	s_cbranch_vccnz .LBB7_100
; %bb.99:                               ;   in Loop: Header=BB7_11 Depth=1
	v_div_scale_f32 v5, s[4:5], v4, v4, -v3
	v_rcp_f32_e32 v6, v5
	v_div_scale_f32 v7, vcc, -v3, v4, -v3
	v_fma_f32 v20, -v5, v6, 1.0
	v_fmac_f32_e32 v6, v20, v6
	v_mul_f32_e32 v20, v7, v6
	v_fma_f32 v21, -v5, v20, v7
	v_fmac_f32_e32 v20, v21, v6
	v_fma_f32 v5, -v5, v20, v7
	v_div_fmas_f32 v5, v5, v6, v20
	v_div_fixup_f32 v3, v5, v4, -v3
	v_fma_f32 v5, v3, v3, 1.0
	v_mul_f32_e32 v6, 0x4f800000, v5
	v_cmp_gt_f32_e32 vcc, s10, v5
	v_cndmask_b32_e32 v5, v5, v6, vcc
	v_sqrt_f32_e32 v6, v5
	v_add_u32_e32 v7, -1, v6
	v_fma_f32 v20, -v7, v6, v5
	v_cmp_ge_f32_e64 s[4:5], 0, v20
	v_add_u32_e32 v20, 1, v6
	v_cndmask_b32_e64 v7, v6, v7, s[4:5]
	v_fma_f32 v6, -v20, v6, v5
	v_cmp_lt_f32_e64 s[4:5], 0, v6
	v_cndmask_b32_e64 v6, v7, v20, s[4:5]
	v_mul_f32_e32 v7, 0x37800000, v6
	v_cndmask_b32_e32 v6, v6, v7, vcc
	v_cmp_class_f32_e32 vcc, v5, v18
	v_cndmask_b32_e32 v5, v6, v5, vcc
	v_div_scale_f32 v6, s[4:5], v5, v5, 1.0
	v_rcp_f32_e32 v7, v6
	v_fma_f32 v20, -v6, v7, 1.0
	v_fmac_f32_e32 v7, v20, v7
	v_div_scale_f32 v20, vcc, 1.0, v5, 1.0
	v_mul_f32_e32 v21, v20, v7
	v_fma_f32 v22, -v6, v21, v20
	v_fmac_f32_e32 v21, v22, v7
	v_fma_f32 v6, -v6, v21, v20
	v_div_fmas_f32 v6, v6, v7, v21
	v_div_fixup_f32 v5, v6, v5, 1.0
	v_mul_f32_e32 v6, v3, v5
.LBB7_100:                              ;   in Loop: Header=BB7_11 Depth=1
	s_lshl_b64 s[88:89], s[68:69], 2
	s_and_b64 s[4:5], s[26:27], s[74:75]
	s_add_u32 s21, s46, s88
	s_addc_u32 s24, s47, s89
	s_add_u32 s21, s21, 16
	s_addc_u32 s24, s24, 0
	s_sub_u32 s90, s66, s12
	s_subb_u32 s91, s67, s13
	v_mul_f32_e32 v3, v2, v5
	s_lshl_b64 s[12:13], s[90:91], 2
	v_fmac_f32_e32 v3, v4, v6
	s_add_u32 s94, s14, s12
	global_store_dword v9, v3, s[86:87] offset:-4
	s_addc_u32 s95, s15, s13
	global_load_dword v7, v9, s[94:95] offset:-4
	v_cndmask_b32_e64 v3, 0, 1, s[4:5]
	v_writelane_b32 v31, s92, 25
	v_cmp_ne_u32_e64 s[12:13], 1, v3
	s_andn2_b64 vcc, exec, s[4:5]
	v_writelane_b32 v31, s93, 26
	s_waitcnt vmcnt(0)
	v_mul_f32_e32 v3, v6, v7
	global_store_dword v9, v3, s[94:95] offset:-4
	s_cbranch_vccnz .LBB7_102
; %bb.101:                              ;   in Loop: Header=BB7_11 Depth=1
	s_add_u32 s4, s21, s82
	s_addc_u32 s5, s24, s83
	s_ashr_i32 s79, s78, 31
	s_lshl_b64 s[30:31], s[78:79], 2
	s_add_u32 s30, s4, s30
	s_addc_u32 s31, s5, s31
	global_store_dword v9, v6, s[4:5] offset:-4
	global_store_dword v9, v5, s[30:31] offset:-4
.LBB7_102:                              ;   in Loop: Header=BB7_11 Depth=1
	s_cmp_lg_u32 s66, 1
	s_cselect_b64 s[30:31], -1, 0
	s_cmp_eq_u32 s66, 1
	v_readlane_b32 s48, v31, 2
	s_cselect_b64 s[4:5], -1, 0
	v_readlane_b32 s49, v31, 3
	s_or_b64 s[92:93], s[48:49], s[4:5]
	s_and_b64 vcc, exec, s[92:93]
	s_cbranch_vccnz .LBB7_104
; %bb.103:                              ;   in Loop: Header=BB7_11 Depth=1
	s_ashr_i32 s5, s29, 31
	s_add_u32 s4, s80, s29
	s_addc_u32 s5, s81, s5
	s_lshl_b64 s[4:5], s[4:5], 2
	s_add_u32 s4, s21, s4
	s_addc_u32 s5, s24, s5
	s_ashr_i32 s79, s78, 31
	s_lshl_b64 s[48:49], s[78:79], 2
	s_add_u32 s48, s4, s48
	s_addc_u32 s49, s5, s49
	global_store_dword v9, v6, s[4:5] offset:-4
	global_store_dword v9, v5, s[48:49] offset:-4
.LBB7_104:                              ;   in Loop: Header=BB7_11 Depth=1
	v_mul_f32_e32 v3, v4, v5
	v_fma_f32 v3, v2, v6, -v3
	v_mul_f32_e64 v2, v7, -v5
	v_cmp_eq_f32_e32 vcc, 0, v2
	v_mov_b32_e32 v4, 0
	s_cbranch_vccnz .LBB7_108
; %bb.105:                              ;   in Loop: Header=BB7_11 Depth=1
	v_cmp_eq_f32_e32 vcc, 0, v3
	s_cbranch_vccnz .LBB7_109
; %bb.106:                              ;   in Loop: Header=BB7_11 Depth=1
	v_cmp_gt_f32_e64 s[4:5], |v2|, |v3|
	s_and_b64 vcc, exec, s[4:5]
	s_cbranch_vccnz .LBB7_110
; %bb.107:                              ;   in Loop: Header=BB7_11 Depth=1
	v_div_scale_f32 v4, s[4:5], v3, v3, -v2
	v_rcp_f32_e32 v5, v4
	v_div_scale_f32 v6, vcc, -v2, v3, -v2
	v_fma_f32 v7, -v4, v5, 1.0
	v_fmac_f32_e32 v5, v7, v5
	v_mul_f32_e32 v7, v6, v5
	v_fma_f32 v20, -v4, v7, v6
	v_fmac_f32_e32 v7, v20, v5
	v_fma_f32 v4, -v4, v7, v6
	v_div_fmas_f32 v4, v4, v5, v7
	v_div_fixup_f32 v4, v4, v3, -v2
	v_fma_f32 v5, v4, v4, 1.0
	v_mul_f32_e32 v6, 0x4f800000, v5
	v_cmp_gt_f32_e32 vcc, s10, v5
	v_cndmask_b32_e32 v5, v5, v6, vcc
	v_sqrt_f32_e32 v6, v5
	v_add_u32_e32 v7, -1, v6
	v_fma_f32 v21, -v7, v6, v5
	v_add_u32_e32 v20, 1, v6
	v_cmp_ge_f32_e64 s[4:5], 0, v21
	v_cndmask_b32_e64 v7, v6, v7, s[4:5]
	v_fma_f32 v6, -v20, v6, v5
	v_cmp_lt_f32_e64 s[4:5], 0, v6
	v_cndmask_b32_e64 v6, v7, v20, s[4:5]
	v_mul_f32_e32 v7, 0x37800000, v6
	v_cndmask_b32_e32 v6, v6, v7, vcc
	v_cmp_class_f32_e32 vcc, v5, v18
	v_cndmask_b32_e32 v5, v6, v5, vcc
	v_div_scale_f32 v6, s[4:5], v5, v5, 1.0
	v_rcp_f32_e32 v7, v6
	s_mov_b64 s[4:5], 0
	v_fma_f32 v20, -v6, v7, 1.0
	v_fmac_f32_e32 v7, v20, v7
	v_div_scale_f32 v20, vcc, 1.0, v5, 1.0
	v_mul_f32_e32 v21, v20, v7
	v_fma_f32 v22, -v6, v21, v20
	v_fmac_f32_e32 v21, v22, v7
	v_fma_f32 v6, -v6, v21, v20
	v_div_fmas_f32 v6, v6, v7, v21
	v_div_fixup_f32 v5, v6, v5, 1.0
	v_mul_f32_e32 v4, v4, v5
	s_branch .LBB7_111
.LBB7_108:                              ;   in Loop: Header=BB7_11 Depth=1
	v_mov_b32_e32 v5, 1.0
	s_branch .LBB7_115
.LBB7_109:                              ;   in Loop: Header=BB7_11 Depth=1
                                        ; implicit-def: $vgpr3
                                        ; implicit-def: $vgpr4
                                        ; implicit-def: $vgpr5
	s_cbranch_execnz .LBB7_114
	s_branch .LBB7_115
.LBB7_110:                              ;   in Loop: Header=BB7_11 Depth=1
	s_mov_b64 s[4:5], -1
                                        ; implicit-def: $vgpr4
                                        ; implicit-def: $vgpr5
.LBB7_111:                              ;   in Loop: Header=BB7_11 Depth=1
	s_andn2_b64 vcc, exec, s[4:5]
	s_cbranch_vccnz .LBB7_113
; %bb.112:                              ;   in Loop: Header=BB7_11 Depth=1
	v_div_scale_f32 v4, s[4:5], v2, v2, -v3
	v_rcp_f32_e32 v5, v4
	v_div_scale_f32 v6, vcc, -v3, v2, -v3
	v_fma_f32 v7, -v4, v5, 1.0
	v_fmac_f32_e32 v5, v7, v5
	v_mul_f32_e32 v7, v6, v5
	v_fma_f32 v20, -v4, v7, v6
	v_fmac_f32_e32 v7, v20, v5
	v_fma_f32 v4, -v4, v7, v6
	v_div_fmas_f32 v4, v4, v5, v7
	v_div_fixup_f32 v5, v4, v2, -v3
	v_fma_f32 v4, v5, v5, 1.0
	v_mul_f32_e32 v6, 0x4f800000, v4
	v_cmp_gt_f32_e32 vcc, s10, v4
	v_cndmask_b32_e32 v4, v4, v6, vcc
	v_sqrt_f32_e32 v6, v4
	v_add_u32_e32 v7, -1, v6
	v_fma_f32 v21, -v7, v6, v4
	v_add_u32_e32 v20, 1, v6
	v_cmp_ge_f32_e64 s[4:5], 0, v21
	v_cndmask_b32_e64 v7, v6, v7, s[4:5]
	v_fma_f32 v6, -v20, v6, v4
	v_cmp_lt_f32_e64 s[4:5], 0, v6
	v_cndmask_b32_e64 v6, v7, v20, s[4:5]
	v_mul_f32_e32 v7, 0x37800000, v6
	v_cndmask_b32_e32 v6, v6, v7, vcc
	v_cmp_class_f32_e32 vcc, v4, v18
	v_cndmask_b32_e32 v4, v6, v4, vcc
	v_div_scale_f32 v6, s[4:5], v4, v4, 1.0
	v_rcp_f32_e32 v7, v6
	v_fma_f32 v20, -v6, v7, 1.0
	v_fmac_f32_e32 v7, v20, v7
	v_div_scale_f32 v20, vcc, 1.0, v4, 1.0
	v_mul_f32_e32 v21, v20, v7
	v_fma_f32 v22, -v6, v21, v20
	v_fmac_f32_e32 v21, v22, v7
	v_fma_f32 v6, -v6, v21, v20
	v_div_fmas_f32 v6, v6, v7, v21
	v_div_fixup_f32 v4, v6, v4, 1.0
	v_mul_f32_e32 v5, v5, v4
.LBB7_113:                              ;   in Loop: Header=BB7_11 Depth=1
	v_mul_f32_e32 v6, v2, v4
	v_fma_f32 v3, v3, v5, -v6
	s_branch .LBB7_115
.LBB7_114:                              ;   in Loop: Header=BB7_11 Depth=1
	v_xor_b32_e32 v3, 0x80000000, v2
	v_mov_b32_e32 v5, 0
	v_mov_b32_e32 v4, 1.0
.LBB7_115:                              ;   in Loop: Header=BB7_11 Depth=1
	global_store_dword v9, v3, s[14:15]
	global_load_dword v6, v9, s[94:95] offset:-4
	s_nop 0
	global_load_dword v3, v9, s[86:87] offset:-4
	s_cmp_eq_u32 s78, 2
	s_waitcnt vmcnt(1)
	v_mul_f32_e32 v7, v5, v6
	s_waitcnt vmcnt(0)
	v_fmac_f32_e32 v7, v4, v3
	global_store_dword v9, v7, s[94:95] offset:-4
	s_cbranch_scc1 .LBB7_117
; %bb.116:                              ;   in Loop: Header=BB7_11 Depth=1
	s_ashr_i32 s71, s70, 31
	s_lshl_b64 s[4:5], s[70:71], 2
	s_add_u32 s4, s86, s4
	s_addc_u32 s5, s87, s5
	global_load_dword v7, v9, s[4:5] offset:-4
	s_waitcnt vmcnt(0)
	v_mul_f32_e64 v2, v7, -v4
	v_mul_f32_e32 v7, v5, v7
	global_store_dword v9, v7, s[4:5] offset:-4
.LBB7_117:                              ;   in Loop: Header=BB7_11 Depth=1
	s_and_b64 s[4:5], s[26:27], s[30:31]
	v_cndmask_b32_e64 v7, 0, 1, s[4:5]
	v_cmp_ne_u32_e64 s[14:15], 1, v7
	s_andn2_b64 vcc, exec, s[4:5]
	s_cbranch_vccnz .LBB7_119
; %bb.118:                              ;   in Loop: Header=BB7_11 Depth=1
	s_add_u32 s4, s21, s82
	s_addc_u32 s5, s24, s83
	s_ashr_i32 s79, s78, 31
	s_lshl_b64 s[30:31], s[78:79], 2
	s_add_u32 s30, s4, s30
	s_addc_u32 s31, s5, s31
	global_store_dword v9, v5, s[4:5] offset:-4
	global_store_dword v9, v4, s[30:31] offset:-4
.LBB7_119:                              ;   in Loop: Header=BB7_11 Depth=1
	v_readlane_b32 s30, v31, 2
	s_xor_b64 s[4:5], s[74:75], -1
	v_readlane_b32 s31, v31, 3
	s_or_b64 s[4:5], s[30:31], s[4:5]
	s_and_b64 vcc, exec, s[4:5]
	s_cbranch_vccnz .LBB7_121
; %bb.120:                              ;   in Loop: Header=BB7_11 Depth=1
	s_ashr_i32 s25, s29, 31
	s_add_u32 s30, s80, s29
	s_addc_u32 s31, s81, s25
	s_lshl_b64 s[30:31], s[30:31], 2
	s_add_u32 s30, s21, s30
	s_addc_u32 s31, s24, s31
	s_ashr_i32 s79, s78, 31
	s_lshl_b64 s[24:25], s[78:79], 2
	s_add_u32 s24, s30, s24
	s_addc_u32 s25, s31, s25
	global_store_dword v9, v5, s[30:31] offset:-4
	global_store_dword v9, v4, s[24:25] offset:-4
.LBB7_121:                              ;   in Loop: Header=BB7_11 Depth=1
	v_mul_f32_e32 v4, v4, v6
	v_fma_f32 v3, v5, v3, -v4
	s_cmp_eq_u32 s28, 1
	s_mov_b32 s61, 0
	s_cbranch_scc1 .LBB7_154
; %bb.122:                              ;   in Loop: Header=BB7_11 Depth=1
	s_xor_b64 s[80:81], s[92:93], -1
	s_xor_b64 s[82:83], s[4:5], -1
	s_add_i32 s4, s84, s70
	s_add_i32 s61, s28, -1
	s_sub_i32 s24, s84, s76
	s_ashr_i32 s5, s29, 31
	s_ashr_i32 s79, s78, 31
	s_add_u32 s21, s90, s29
	s_addc_u32 s5, s91, s5
	s_ashr_i32 s25, s24, 31
	s_add_u32 s30, s21, s24
	s_addc_u32 s31, s5, s25
	s_lshl_b64 s[30:31], s[30:31], 2
	s_add_u32 s5, s30, s88
	s_addc_u32 s21, s31, s89
	s_lshl_b64 s[30:31], s[78:79], 2
	s_add_u32 s48, s5, s30
	s_addc_u32 s49, s21, s31
	v_readlane_b32 s54, v31, 10
	s_add_u32 s71, s54, s48
	v_readlane_b32 s77, v31, 11
	s_addc_u32 s90, s77, s49
	s_lshl_b32 s48, s66, 1
	s_add_i32 s48, s48, -2
	s_ashr_i32 s49, s48, 31
	s_lshl_b64 s[78:79], s[48:49], 2
	s_or_b32 s78, s78, 4
	s_add_u32 s92, s54, s5
	s_addc_u32 s93, s77, s21
	s_lshl_b64 s[48:49], s[66:67], 3
	s_add_u32 s5, s48, s88
	s_addc_u32 s21, s49, s89
	s_lshl_b64 s[52:53], s[24:25], 2
	s_add_u32 s5, s5, s52
	s_addc_u32 s21, s21, s53
	s_add_u32 s30, s5, s30
	s_addc_u32 s31, s21, s31
	;; [unrolled: 2-line block ×4, first 2 shown]
	v_readlane_b32 s30, v31, 0
	v_readlane_b32 s31, v31, 1
	s_add_u32 s30, s30, s62
	s_addc_u32 s31, s31, s63
	s_add_u32 s24, s30, s24
	s_addc_u32 s25, s31, s25
	s_mul_i32 s21, s66, 12
	s_lshl_b64 s[24:25], s[24:25], 2
	s_mul_hi_i32 s5, s66, 12
	s_add_u32 s21, s21, s24
	s_addc_u32 s5, s5, s25
	s_ashr_i32 s77, s76, 31
	s_lshl_b64 s[24:25], s[76:77], 2
	s_sub_u32 s21, s21, s24
	s_subb_u32 s5, s5, s25
	v_readlane_b32 s24, v31, 12
	s_add_u32 s63, s24, s21
	v_readlane_b32 s21, v31, 14
	s_addc_u32 s95, s21, s5
	s_add_u32 s30, s48, s64
	s_addc_u32 s31, s49, s65
	s_add_u32 s5, s30, s52
	s_addc_u32 s24, s31, s53
	v_readlane_b32 s21, v31, 13
	s_add_u32 s21, s21, s5
	v_readlane_b32 s5, v31, 15
	s_addc_u32 s24, s5, s24
	s_add_u32 s5, s64, s52
	s_addc_u32 s48, s65, s53
	s_add_u32 s25, s36, s5
	s_addc_u32 s48, s42, s48
	s_ashr_i32 s5, s4, 31
	s_lshl_b64 s[4:5], s[4:5], 2
	s_add_u32 s30, s30, s4
	s_addc_u32 s31, s31, s5
	v_readlane_b32 s49, v31, 16
	s_add_u32 s49, s49, s30
	v_readlane_b32 s30, v31, 17
	s_addc_u32 s52, s30, s31
	s_add_u32 s4, s64, s4
	s_addc_u32 s5, s65, s5
	s_add_u32 s53, s22, s4
	s_mov_b32 s91, 1
	s_addc_u32 s54, s33, s5
	s_mov_b64 s[76:77], 0
	s_branch .LBB7_124
.LBB7_123:                              ;   in Loop: Header=BB7_124 Depth=2
	s_add_i32 s91, s91, 1
	s_add_u32 s76, s76, s78
	v_mul_f32_e32 v5, v5, v6
	s_addc_u32 s77, s77, s79
	s_cmp_eq_u32 s28, s91
	v_fma_f32 v3, v4, v3, -v5
	s_cbranch_scc1 .LBB7_154
.LBB7_124:                              ;   Parent Loop BB7_11 Depth=1
                                        ; =>  This Inner Loop Header: Depth=2
	v_cmp_eq_f32_e32 vcc, 0, v2
	v_mov_b32_e32 v4, 0
	s_cbranch_vccnz .LBB7_128
; %bb.125:                              ;   in Loop: Header=BB7_124 Depth=2
	v_cmp_neq_f32_e32 vcc, 0, v3
	s_cbranch_vccz .LBB7_129
; %bb.126:                              ;   in Loop: Header=BB7_124 Depth=2
	v_cmp_ngt_f32_e64 s[4:5], |v2|, |v3|
	s_and_b64 vcc, exec, s[4:5]
	s_cbranch_vccz .LBB7_130
; %bb.127:                              ;   in Loop: Header=BB7_124 Depth=2
	v_div_scale_f32 v4, s[4:5], v3, v3, -v2
	v_rcp_f32_e32 v5, v4
	v_div_scale_f32 v6, vcc, -v2, v3, -v2
	v_fma_f32 v7, -v4, v5, 1.0
	v_fmac_f32_e32 v5, v7, v5
	v_mul_f32_e32 v7, v6, v5
	v_fma_f32 v20, -v4, v7, v6
	v_fmac_f32_e32 v7, v20, v5
	v_fma_f32 v4, -v4, v7, v6
	v_div_fmas_f32 v4, v4, v5, v7
	v_div_fixup_f32 v4, v4, v3, -v2
	v_fma_f32 v5, v4, v4, 1.0
	v_mul_f32_e32 v6, 0x4f800000, v5
	v_cmp_gt_f32_e32 vcc, s10, v5
	v_cndmask_b32_e32 v5, v5, v6, vcc
	v_sqrt_f32_e32 v6, v5
	v_add_u32_e32 v7, -1, v6
	v_fma_f32 v21, -v7, v6, v5
	v_add_u32_e32 v20, 1, v6
	v_cmp_ge_f32_e64 s[4:5], 0, v21
	v_cndmask_b32_e64 v7, v6, v7, s[4:5]
	v_fma_f32 v6, -v20, v6, v5
	v_cmp_lt_f32_e64 s[4:5], 0, v6
	v_cndmask_b32_e64 v6, v7, v20, s[4:5]
	v_mul_f32_e32 v7, 0x37800000, v6
	v_cndmask_b32_e32 v6, v6, v7, vcc
	v_cmp_class_f32_e32 vcc, v5, v18
	v_cndmask_b32_e32 v5, v6, v5, vcc
	v_div_scale_f32 v6, s[4:5], v5, v5, 1.0
	v_rcp_f32_e32 v7, v6
	v_fma_f32 v20, -v6, v7, 1.0
	v_fmac_f32_e32 v7, v20, v7
	v_div_scale_f32 v20, vcc, 1.0, v5, 1.0
	v_mul_f32_e32 v21, v20, v7
	v_fma_f32 v22, -v6, v21, v20
	v_fmac_f32_e32 v21, v22, v7
	v_fma_f32 v6, -v6, v21, v20
	v_div_fmas_f32 v6, v6, v7, v21
	v_div_fixup_f32 v5, v6, v5, 1.0
	v_mul_f32_e32 v4, v4, v5
	s_cbranch_execz .LBB7_131
	s_branch .LBB7_132
.LBB7_128:                              ;   in Loop: Header=BB7_124 Depth=2
	v_mov_b32_e32 v5, 1.0
	s_branch .LBB7_134
.LBB7_129:                              ;   in Loop: Header=BB7_124 Depth=2
                                        ; implicit-def: $vgpr3
                                        ; implicit-def: $vgpr4
                                        ; implicit-def: $vgpr5
	s_cbranch_execnz .LBB7_133
	s_branch .LBB7_134
.LBB7_130:                              ;   in Loop: Header=BB7_124 Depth=2
                                        ; implicit-def: $vgpr4
                                        ; implicit-def: $vgpr5
.LBB7_131:                              ;   in Loop: Header=BB7_124 Depth=2
	v_div_scale_f32 v4, s[4:5], v2, v2, -v3
	v_rcp_f32_e32 v5, v4
	v_div_scale_f32 v6, vcc, -v3, v2, -v3
	v_fma_f32 v7, -v4, v5, 1.0
	v_fmac_f32_e32 v5, v7, v5
	v_mul_f32_e32 v7, v6, v5
	v_fma_f32 v20, -v4, v7, v6
	v_fmac_f32_e32 v7, v20, v5
	v_fma_f32 v4, -v4, v7, v6
	v_div_fmas_f32 v4, v4, v5, v7
	v_div_fixup_f32 v5, v4, v2, -v3
	v_fma_f32 v4, v5, v5, 1.0
	v_mul_f32_e32 v6, 0x4f800000, v4
	v_cmp_gt_f32_e32 vcc, s10, v4
	v_cndmask_b32_e32 v4, v4, v6, vcc
	v_sqrt_f32_e32 v6, v4
	v_add_u32_e32 v7, -1, v6
	v_fma_f32 v21, -v7, v6, v4
	v_add_u32_e32 v20, 1, v6
	v_cmp_ge_f32_e64 s[4:5], 0, v21
	v_cndmask_b32_e64 v7, v6, v7, s[4:5]
	v_fma_f32 v6, -v20, v6, v4
	v_cmp_lt_f32_e64 s[4:5], 0, v6
	v_cndmask_b32_e64 v6, v7, v20, s[4:5]
	v_mul_f32_e32 v7, 0x37800000, v6
	v_cndmask_b32_e32 v6, v6, v7, vcc
	v_cmp_class_f32_e32 vcc, v4, v18
	v_cndmask_b32_e32 v4, v6, v4, vcc
	v_div_scale_f32 v6, s[4:5], v4, v4, 1.0
	v_rcp_f32_e32 v7, v6
	v_fma_f32 v20, -v6, v7, 1.0
	v_fmac_f32_e32 v7, v20, v7
	v_div_scale_f32 v20, vcc, 1.0, v4, 1.0
	v_mul_f32_e32 v21, v20, v7
	v_fma_f32 v22, -v6, v21, v20
	v_fmac_f32_e32 v21, v22, v7
	v_fma_f32 v6, -v6, v21, v20
	v_div_fmas_f32 v6, v6, v7, v21
	v_div_fixup_f32 v4, v6, v4, 1.0
	v_mul_f32_e32 v5, v5, v4
.LBB7_132:                              ;   in Loop: Header=BB7_124 Depth=2
	v_mul_f32_e32 v6, v2, v4
	v_fma_f32 v3, v3, v5, -v6
	s_branch .LBB7_134
.LBB7_133:                              ;   in Loop: Header=BB7_124 Depth=2
	v_xor_b32_e32 v3, 0x80000000, v2
	v_mov_b32_e32 v5, 0
	v_mov_b32_e32 v4, 1.0
.LBB7_134:                              ;   in Loop: Header=BB7_124 Depth=2
	s_add_u32 s4, s25, s76
	s_addc_u32 s5, s48, s77
	s_add_u32 s84, s53, s76
	s_addc_u32 s85, s54, s77
	s_add_u32 s30, s21, s76
	global_store_dword v9, v3, s[4:5]
	s_addc_u32 s31, s24, s77
	global_load_dword v3, v9, s[30:31]
	global_load_dword v2, v9, s[84:85]
	s_add_u32 s86, s49, s76
	s_addc_u32 s87, s52, s77
	s_and_b64 vcc, exec, s[12:13]
	s_waitcnt vmcnt(1)
	v_mul_f32_e32 v6, v5, v3
	s_waitcnt vmcnt(0)
	v_fmac_f32_e32 v6, v4, v2
	global_store_dword v9, v6, s[30:31]
	global_load_dword v6, v9, s[86:87]
	s_waitcnt vmcnt(0)
	v_mul_f32_e32 v7, v5, v6
	global_store_dword v9, v7, s[86:87]
	s_cbranch_vccnz .LBB7_136
; %bb.135:                              ;   in Loop: Header=BB7_124 Depth=2
	s_add_u32 s4, s89, s76
	s_addc_u32 s5, s94, s77
	s_add_u32 vcc_lo, s67, s76
	s_addc_u32 vcc_hi, s88, s77
	global_store_dword v9, v5, s[4:5]
	global_store_dword v9, v4, vcc
.LBB7_136:                              ;   in Loop: Header=BB7_124 Depth=2
	s_andn2_b64 vcc, exec, s[80:81]
	s_cbranch_vccnz .LBB7_138
; %bb.137:                              ;   in Loop: Header=BB7_124 Depth=2
	s_add_u32 s4, s92, s76
	s_addc_u32 s5, s93, s77
	s_add_u32 vcc_lo, s71, s76
	s_addc_u32 vcc_hi, s90, s77
	global_store_dword v9, v5, s[4:5]
	global_store_dword v9, v4, vcc
.LBB7_138:                              ;   in Loop: Header=BB7_124 Depth=2
	v_mul_f32_e32 v3, v4, v3
	v_fma_f32 v3, v5, v2, -v3
	v_mul_f32_e64 v2, v6, -v4
	v_cmp_eq_f32_e32 vcc, 0, v2
	v_mov_b32_e32 v5, 0
	s_cbranch_vccnz .LBB7_142
; %bb.139:                              ;   in Loop: Header=BB7_124 Depth=2
	v_cmp_neq_f32_e32 vcc, 0, v3
	s_cbranch_vccz .LBB7_143
; %bb.140:                              ;   in Loop: Header=BB7_124 Depth=2
	v_cmp_ngt_f32_e64 s[4:5], |v2|, |v3|
	s_and_b64 vcc, exec, s[4:5]
	s_cbranch_vccz .LBB7_144
; %bb.141:                              ;   in Loop: Header=BB7_124 Depth=2
	v_div_scale_f32 v4, s[4:5], v3, v3, -v2
	v_rcp_f32_e32 v5, v4
	v_div_scale_f32 v6, vcc, -v2, v3, -v2
	v_fma_f32 v7, -v4, v5, 1.0
	v_fmac_f32_e32 v5, v7, v5
	v_mul_f32_e32 v7, v6, v5
	v_fma_f32 v20, -v4, v7, v6
	v_fmac_f32_e32 v7, v20, v5
	v_fma_f32 v4, -v4, v7, v6
	v_div_fmas_f32 v4, v4, v5, v7
	v_div_fixup_f32 v5, v4, v3, -v2
	v_fma_f32 v4, v5, v5, 1.0
	v_mul_f32_e32 v6, 0x4f800000, v4
	v_cmp_gt_f32_e32 vcc, s10, v4
	v_cndmask_b32_e32 v4, v4, v6, vcc
	v_sqrt_f32_e32 v6, v4
	v_add_u32_e32 v7, -1, v6
	v_fma_f32 v21, -v7, v6, v4
	v_add_u32_e32 v20, 1, v6
	v_cmp_ge_f32_e64 s[4:5], 0, v21
	v_cndmask_b32_e64 v7, v6, v7, s[4:5]
	v_fma_f32 v6, -v20, v6, v4
	v_cmp_lt_f32_e64 s[4:5], 0, v6
	v_cndmask_b32_e64 v6, v7, v20, s[4:5]
	v_mul_f32_e32 v7, 0x37800000, v6
	v_cndmask_b32_e32 v6, v6, v7, vcc
	v_cmp_class_f32_e32 vcc, v4, v18
	v_cndmask_b32_e32 v4, v6, v4, vcc
	v_div_scale_f32 v6, s[4:5], v4, v4, 1.0
	v_rcp_f32_e32 v7, v6
	v_fma_f32 v20, -v6, v7, 1.0
	v_fmac_f32_e32 v7, v20, v7
	v_div_scale_f32 v20, vcc, 1.0, v4, 1.0
	v_mul_f32_e32 v21, v20, v7
	v_fma_f32 v22, -v6, v21, v20
	v_fmac_f32_e32 v21, v22, v7
	v_fma_f32 v6, -v6, v21, v20
	v_div_fmas_f32 v6, v6, v7, v21
	v_div_fixup_f32 v4, v6, v4, 1.0
	v_mul_f32_e32 v5, v5, v4
	s_cbranch_execz .LBB7_145
	s_branch .LBB7_146
.LBB7_142:                              ;   in Loop: Header=BB7_124 Depth=2
	v_mov_b32_e32 v4, 1.0
	s_branch .LBB7_148
.LBB7_143:                              ;   in Loop: Header=BB7_124 Depth=2
                                        ; implicit-def: $vgpr3
                                        ; implicit-def: $vgpr5
                                        ; implicit-def: $vgpr4
	s_cbranch_execnz .LBB7_147
	s_branch .LBB7_148
.LBB7_144:                              ;   in Loop: Header=BB7_124 Depth=2
                                        ; implicit-def: $vgpr5
                                        ; implicit-def: $vgpr4
.LBB7_145:                              ;   in Loop: Header=BB7_124 Depth=2
	v_div_scale_f32 v4, s[4:5], v2, v2, -v3
	v_rcp_f32_e32 v5, v4
	v_div_scale_f32 v6, vcc, -v3, v2, -v3
	v_fma_f32 v7, -v4, v5, 1.0
	v_fmac_f32_e32 v5, v7, v5
	v_mul_f32_e32 v7, v6, v5
	v_fma_f32 v20, -v4, v7, v6
	v_fmac_f32_e32 v7, v20, v5
	v_fma_f32 v4, -v4, v7, v6
	v_div_fmas_f32 v4, v4, v5, v7
	v_div_fixup_f32 v4, v4, v2, -v3
	v_fma_f32 v5, v4, v4, 1.0
	v_mul_f32_e32 v6, 0x4f800000, v5
	v_cmp_gt_f32_e32 vcc, s10, v5
	v_cndmask_b32_e32 v5, v5, v6, vcc
	v_sqrt_f32_e32 v6, v5
	v_add_u32_e32 v7, -1, v6
	v_fma_f32 v21, -v7, v6, v5
	v_add_u32_e32 v20, 1, v6
	v_cmp_ge_f32_e64 s[4:5], 0, v21
	v_cndmask_b32_e64 v7, v6, v7, s[4:5]
	v_fma_f32 v6, -v20, v6, v5
	v_cmp_lt_f32_e64 s[4:5], 0, v6
	v_cndmask_b32_e64 v6, v7, v20, s[4:5]
	v_mul_f32_e32 v7, 0x37800000, v6
	v_cndmask_b32_e32 v6, v6, v7, vcc
	v_cmp_class_f32_e32 vcc, v5, v18
	v_cndmask_b32_e32 v5, v6, v5, vcc
	v_div_scale_f32 v6, s[4:5], v5, v5, 1.0
	v_rcp_f32_e32 v7, v6
	v_fma_f32 v20, -v6, v7, 1.0
	v_fmac_f32_e32 v7, v20, v7
	v_div_scale_f32 v20, vcc, 1.0, v5, 1.0
	v_mul_f32_e32 v21, v20, v7
	v_fma_f32 v22, -v6, v21, v20
	v_fmac_f32_e32 v21, v22, v7
	v_fma_f32 v6, -v6, v21, v20
	v_div_fmas_f32 v6, v6, v7, v21
	v_div_fixup_f32 v5, v6, v5, 1.0
	v_mul_f32_e32 v4, v4, v5
.LBB7_146:                              ;   in Loop: Header=BB7_124 Depth=2
	v_mul_f32_e32 v6, v2, v5
	v_fma_f32 v3, v3, v4, -v6
	s_branch .LBB7_148
.LBB7_147:                              ;   in Loop: Header=BB7_124 Depth=2
	v_xor_b32_e32 v3, 0x80000000, v2
	v_mov_b32_e32 v4, 0
	v_mov_b32_e32 v5, 1.0
.LBB7_148:                              ;   in Loop: Header=BB7_124 Depth=2
	global_store_dword v9, v3, s[84:85]
	global_load_dword v6, v9, s[86:87]
	s_nop 0
	global_load_dword v3, v9, s[30:31]
	s_cmp_ge_i32 s91, s61
	s_waitcnt vmcnt(1)
	v_mul_f32_e32 v7, v4, v6
	s_waitcnt vmcnt(0)
	v_fmac_f32_e32 v7, v5, v3
	global_store_dword v9, v7, s[86:87]
	s_cbranch_scc0 .LBB7_151
; %bb.149:                              ;   in Loop: Header=BB7_124 Depth=2
	s_and_b64 vcc, exec, s[14:15]
	s_cbranch_vccz .LBB7_152
.LBB7_150:                              ;   in Loop: Header=BB7_124 Depth=2
	s_andn2_b64 vcc, exec, s[82:83]
	s_cbranch_vccnz .LBB7_123
	s_branch .LBB7_153
.LBB7_151:                              ;   in Loop: Header=BB7_124 Depth=2
	s_add_u32 s4, s63, s76
	s_addc_u32 s5, s95, s77
	global_load_dword v7, v9, s[4:5]
	s_waitcnt vmcnt(0)
	v_mul_f32_e64 v2, v7, -v5
	v_mul_f32_e32 v7, v4, v7
	global_store_dword v9, v7, s[4:5]
	s_and_b64 vcc, exec, s[14:15]
	s_cbranch_vccnz .LBB7_150
.LBB7_152:                              ;   in Loop: Header=BB7_124 Depth=2
	s_add_u32 s4, s89, s76
	s_addc_u32 s5, s94, s77
	s_add_u32 s30, s67, s76
	s_addc_u32 s31, s88, s77
	global_store_dword v9, v4, s[4:5]
	global_store_dword v9, v5, s[30:31]
	s_andn2_b64 vcc, exec, s[82:83]
	s_cbranch_vccnz .LBB7_123
.LBB7_153:                              ;   in Loop: Header=BB7_124 Depth=2
	s_add_u32 s4, s92, s76
	s_addc_u32 s5, s93, s77
	s_add_u32 s30, s71, s76
	s_addc_u32 s31, s90, s77
	global_store_dword v9, v4, s[4:5]
	global_store_dword v9, v5, s[30:31]
	s_branch .LBB7_123
.LBB7_154:                              ;   in Loop: Header=BB7_11 Depth=1
	v_readlane_b32 s88, v31, 21
	v_readlane_b32 s90, v31, 23
	;; [unrolled: 1-line block ×3, first 2 shown]
	s_mov_b32 s83, s55
	v_readlane_b32 s89, v31, 22
	v_readlane_b32 s82, v31, 20
	;; [unrolled: 1-line block ×4, first 2 shown]
.LBB7_155:                              ;   in Loop: Header=BB7_11 Depth=1
	s_and_b64 s[4:5], s[74:75], exec
	s_cselect_b32 s4, s61, 0
	s_ashr_i32 s5, s4, 31
	s_lshl_b64 s[4:5], s[4:5], 2
	s_add_u32 s4, s11, s4
	s_addc_u32 s5, s9, s5
	global_store_dword v9, v3, s[4:5]
.LBB7_156:                              ;   in Loop: Header=BB7_11 Depth=1
	s_or_b64 exec, exec, s[72:73]
	s_andn2_b64 vcc, exec, s[88:89]
	s_barrier
	s_cbranch_vccz .LBB7_159
; %bb.157:                              ;   in Loop: Header=BB7_11 Depth=1
	s_andn2_b64 vcc, exec, s[92:93]
	s_cbranch_vccz .LBB7_166
.LBB7_158:                              ;   in Loop: Header=BB7_11 Depth=1
	s_andn2_b64 vcc, exec, s[50:51]
	s_cbranch_vccnz .LBB7_10
	s_branch .LBB7_173
.LBB7_159:                              ;   in Loop: Header=BB7_11 Depth=1
	s_and_saveexec_b64 s[12:13], s[90:91]
	s_cbranch_execz .LBB7_165
; %bb.160:                              ;   in Loop: Header=BB7_11 Depth=1
	v_readlane_b32 s14, v31, 4
	v_readlane_b32 s15, v31, 5
	s_load_dword s5, s[14:15], 0xc
	s_add_u32 s9, s40, s64
	s_addc_u32 s11, s41, s65
	s_add_i32 s4, s28, -1
	s_cmp_eq_u32 s66, 0
	s_cselect_b32 s21, s28, 0
	s_cselect_b32 s4, s4, 0
	s_cmp_gt_i32 s28, 0
	s_cselect_b64 s[14:15], -1, 0
	s_waitcnt lgkmcnt(0)
	s_and_b32 s24, s5, 0xffff
	s_ashr_i32 s5, s4, 31
	s_lshl_b64 s[4:5], s[4:5], 2
	s_lshl_b64 s[30:31], s[68:69], 2
	s_add_u32 s49, s4, s30
	s_addc_u32 s52, s5, s31
	s_add_u32 s25, s19, s49
	s_addc_u32 s48, s8, s52
	s_lshl_b32 s54, s66, 1
	s_add_i32 s30, s54, -2
	s_ashr_i32 s31, s30, 31
	s_lshl_b64 s[72:73], s[30:31], 2
	s_ashr_i32 s61, s60, 31
	s_or_b32 s72, s72, 4
	s_lshl_b64 s[4:5], s[60:61], 2
	s_add_u32 s4, s49, s4
	s_addc_u32 s5, s52, s5
	s_sub_u32 s4, s4, s64
	s_subb_u32 s5, s5, s65
	v_readlane_b32 s49, v31, 18
	s_add_u32 s49, s49, s4
	v_readlane_b32 s4, v31, 19
	s_addc_u32 s52, s4, s5
	s_add_i32 s54, s54, s21
	v_add_u32_e32 v2, s21, v14
	s_mul_i32 s53, s23, s24
	s_not_b64 s[74:75], s[30:31]
	v_add_u32_e32 v4, s54, v15
	s_or_b32 s30, s30, 1
	s_mov_b64 s[76:77], 0
	v_mov_b32_e32 v20, v0
	s_branch .LBB7_162
.LBB7_161:                              ;   in Loop: Header=BB7_162 Depth=2
	v_lshlrev_b64 v[6:7], 2, v[6:7]
	v_mov_b32_e32 v3, s11
	v_add_co_u32_e32 v6, vcc, s9, v6
	v_addc_co_u32_e32 v7, vcc, v3, v7, vcc
	v_add_u32_e32 v20, s24, v20
	v_cmp_le_i32_e32 vcc, s37, v20
	v_add_u32_e32 v2, s53, v2
	s_or_b64 s[76:77], vcc, s[76:77]
	v_add_u32_e32 v4, s53, v4
	s_waitcnt vmcnt(0) lgkmcnt(0)
	flat_store_dword v[6:7], v21
	s_andn2_b64 exec, exec, s[76:77]
	s_cbranch_execz .LBB7_165
.LBB7_162:                              ;   Parent Loop BB7_11 Depth=1
                                        ; =>  This Loop Header: Depth=2
                                        ;       Child Loop BB7_164 Depth 3
	v_mul_lo_u32 v3, v20, s23
	v_add_u32_e32 v6, s21, v3
	v_ashrrev_i32_e32 v7, 31, v6
	v_lshlrev_b64 v[22:23], 2, v[6:7]
	v_mov_b32_e32 v3, s11
	v_add_co_u32_e32 v22, vcc, s9, v22
	v_addc_co_u32_e32 v23, vcc, v3, v23, vcc
	flat_load_dword v21, v[22:23]
	s_andn2_b64 vcc, exec, s[14:15]
	s_cbranch_vccnz .LBB7_161
; %bb.163:                              ;   in Loop: Header=BB7_162 Depth=2
	v_ashrrev_i32_e32 v3, 31, v2
	v_lshlrev_b64 v[6:7], 2, v[2:3]
	v_mov_b32_e32 v23, s11
	v_add_co_u32_e32 v3, vcc, s9, v6
	v_addc_co_u32_e32 v22, vcc, v23, v7, vcc
	v_ashrrev_i32_e32 v5, 31, v4
	v_mov_b32_e32 v7, s75
	v_add_co_u32_e32 v6, vcc, s74, v4
	v_addc_co_u32_e32 v7, vcc, v7, v5, vcc
	v_lshlrev_b64 v[24:25], 2, v[4:5]
	v_add_co_u32_e32 v5, vcc, s9, v24
	v_addc_co_u32_e32 v23, vcc, v23, v25, vcc
	s_mov_b64 s[78:79], 0
	s_mov_b32 s54, s28
.LBB7_164:                              ;   Parent Loop BB7_11 Depth=1
                                        ;     Parent Loop BB7_162 Depth=2
                                        ; =>    This Inner Loop Header: Depth=3
	s_add_u32 s4, s25, s78
	v_mov_b32_e32 v26, s79
	v_add_co_u32_e32 v24, vcc, s78, v5
	s_addc_u32 s5, s48, s79
	v_addc_co_u32_e32 v25, vcc, v23, v26, vcc
	s_add_u32 s80, s49, s78
	flat_load_dword v27, v[24:25]
	s_addc_u32 s81, s52, s79
	global_load_dword v28, v9, s[80:81]
	global_load_dword v29, v9, s[4:5] offset:16
	v_add_co_u32_e64 v24, s[4:5], s78, v3
	s_add_i32 s54, s54, -1
	v_addc_co_u32_e64 v25, s[4:5], v22, v26, s[4:5]
	s_add_u32 s78, s78, s72
	v_mov_b32_e32 v30, s31
	v_add_co_u32_e32 v6, vcc, s30, v6
	s_addc_u32 s79, s79, s73
	v_addc_co_u32_e32 v7, vcc, v7, v30, vcc
	s_cmp_eq_u32 s54, 0
	s_waitcnt vmcnt(0) lgkmcnt(0)
	v_mul_f32_e32 v26, v27, v28
	v_fma_f32 v26, v21, v29, -v26
	v_mul_f32_e32 v21, v21, v28
	v_fmac_f32_e32 v21, v27, v29
	flat_store_dword v[24:25], v26
	s_cbranch_scc0 .LBB7_164
	s_branch .LBB7_161
.LBB7_165:                              ;   in Loop: Header=BB7_11 Depth=1
	s_or_b64 exec, exec, s[12:13]
	s_andn2_b64 vcc, exec, s[92:93]
	s_cbranch_vccnz .LBB7_158
.LBB7_166:                              ;   in Loop: Header=BB7_11 Depth=1
	s_mov_b64 s[4:5], exec
	v_readlane_b32 s12, v31, 6
	v_readlane_b32 s13, v31, 7
	s_and_b64 s[12:13], s[4:5], s[12:13]
	s_mov_b64 exec, s[12:13]
	s_cbranch_execz .LBB7_172
; %bb.167:                              ;   in Loop: Header=BB7_11 Depth=1
	s_mul_i32 s12, s62, s83
	s_ashr_i32 s13, s12, 31
	s_lshl_b64 s[12:13], s[12:13], 2
	v_readlane_b32 s14, v31, 4
	s_add_u32 s9, s34, s12
	v_readlane_b32 s15, v31, 5
	s_addc_u32 s11, s35, s13
	s_add_i32 s12, s28, -1
	s_load_dword s15, s[14:15], 0xc
	s_cmp_eq_u32 s66, 0
	s_cselect_b32 s12, s12, 0
	s_cselect_b32 s52, s28, 0
	s_add_i32 s14, s12, s29
	s_cmp_gt_i32 s28, 0
	s_cselect_b64 s[12:13], -1, 0
	s_waitcnt lgkmcnt(0)
	s_and_b32 s24, s15, 0xffff
	s_ashr_i32 s15, s14, 31
	s_lshl_b64 s[30:31], s[68:69], 2
	s_lshl_b64 s[14:15], s[14:15], 2
	s_add_u32 s14, s30, s14
	s_addc_u32 s15, s31, s15
	s_add_u32 s14, s19, s14
	s_addc_u32 s15, s8, s15
	s_lshl_b32 s53, s66, 1
	s_add_i32 s30, s53, -2
	s_ashr_i32 s31, s30, 31
	s_lshl_b64 s[30:31], s[30:31], 2
	s_ashr_i32 s61, s60, 31
	s_or_b32 s30, s30, 4
	s_lshl_b64 s[48:49], s[60:61], 2
	s_sub_u32 s25, s48, s64
	s_subb_u32 s48, s49, s65
	s_add_u32 s25, s25, 20
	s_mul_i32 s21, s52, s83
	s_addc_u32 s48, s48, 0
	s_add_i32 s52, s52, s53
	s_add_i32 s52, s52, -1
	s_mul_i32 s52, s83, s52
	v_add_u32_e32 v4, s21, v0
	s_mul_i32 s49, s83, s70
	v_add_u32_e32 v5, s52, v0
	s_mov_b64 s[62:63], 0
	v_mov_b32_e32 v6, v0
	s_branch .LBB7_169
.LBB7_168:                              ;   in Loop: Header=BB7_169 Depth=2
	v_lshlrev_b64 v[2:3], 2, v[2:3]
	v_mov_b32_e32 v20, s11
	v_add_co_u32_e32 v2, vcc, s9, v2
	v_addc_co_u32_e32 v3, vcc, v20, v3, vcc
	v_add_u32_e32 v6, s24, v6
	v_cmp_le_i32_e32 vcc, s38, v6
	v_add_u32_e32 v4, s24, v4
	s_or_b64 s[62:63], vcc, s[62:63]
	v_add_u32_e32 v5, s24, v5
	s_waitcnt vmcnt(0) lgkmcnt(0)
	flat_store_dword v[2:3], v7
	s_andn2_b64 exec, exec, s[62:63]
	s_cbranch_execz .LBB7_172
.LBB7_169:                              ;   Parent Loop BB7_11 Depth=1
                                        ; =>  This Loop Header: Depth=2
                                        ;       Child Loop BB7_171 Depth 3
	v_add_u32_e32 v2, s21, v6
	v_ashrrev_i32_e32 v3, 31, v2
	v_lshlrev_b64 v[20:21], 2, v[2:3]
	v_mov_b32_e32 v7, s11
	v_add_co_u32_e32 v20, vcc, s9, v20
	v_addc_co_u32_e32 v21, vcc, v7, v21, vcc
	flat_load_dword v7, v[20:21]
	s_andn2_b64 vcc, exec, s[12:13]
	s_cbranch_vccnz .LBB7_168
; %bb.170:                              ;   in Loop: Header=BB7_169 Depth=2
	s_mov_b32 s52, 0
	s_mov_b64 s[70:71], s[14:15]
	s_mov_b32 s53, s28
.LBB7_171:                              ;   Parent Loop BB7_11 Depth=1
                                        ;     Parent Loop BB7_169 Depth=2
                                        ; =>    This Inner Loop Header: Depth=3
	v_add_u32_e32 v2, s52, v5
	v_ashrrev_i32_e32 v3, 31, v2
	v_lshlrev_b64 v[20:21], 2, v[2:3]
	v_mov_b32_e32 v22, s11
	s_add_u32 s54, s70, s25
	v_add_co_u32_e32 v20, vcc, s9, v20
	s_addc_u32 s55, s71, s48
	v_addc_co_u32_e32 v21, vcc, v22, v21, vcc
	global_load_dword v23, v9, s[70:71] offset:16
	global_load_dword v24, v9, s[54:55]
	flat_load_dword v25, v[20:21]
	v_add_u32_e32 v20, s52, v4
	v_ashrrev_i32_e32 v21, 31, v20
	v_lshlrev_b64 v[20:21], 2, v[20:21]
	s_add_i32 s53, s53, -1
	v_add_co_u32_e32 v20, vcc, s9, v20
	s_add_u32 s70, s70, s30
	v_addc_co_u32_e32 v21, vcc, v22, v21, vcc
	s_addc_u32 s71, s71, s31
	s_add_i32 s52, s52, s49
	s_cmp_eq_u32 s53, 0
	s_waitcnt vmcnt(0) lgkmcnt(0)
	v_mul_f32_e32 v22, v25, v24
	v_fma_f32 v22, v7, v23, -v22
	v_mul_f32_e32 v7, v7, v24
	v_fmac_f32_e32 v7, v25, v23
	flat_store_dword v[20:21], v22
	s_cbranch_scc0 .LBB7_171
	s_branch .LBB7_168
.LBB7_172:                              ;   in Loop: Header=BB7_11 Depth=1
	s_or_b64 exec, exec, s[4:5]
	s_andn2_b64 vcc, exec, s[50:51]
	s_cbranch_vccnz .LBB7_10
.LBB7_173:                              ;   in Loop: Header=BB7_11 Depth=1
	s_mov_b64 s[12:13], exec
	v_readlane_b32 s4, v31, 8
	v_readlane_b32 s5, v31, 9
	s_and_b64 s[4:5], s[12:13], s[4:5]
	s_mov_b64 exec, s[4:5]
	s_cbranch_execz .LBB7_9
; %bb.174:                              ;   in Loop: Header=BB7_11 Depth=1
	v_readlane_b32 s14, v31, 4
	s_add_u32 s9, s44, s64
	v_readlane_b32 s15, v31, 5
	s_addc_u32 s11, s45, s65
	s_add_i32 s4, s28, -1
	s_load_dword s5, s[14:15], 0xc
	s_cmp_eq_u32 s66, 0
	s_cselect_b32 s4, s4, 0
	s_cselect_b32 s21, s28, 0
	s_add_i32 s4, s4, s29
	s_cmp_gt_i32 s28, 0
	s_cselect_b64 s[14:15], -1, 0
	s_waitcnt lgkmcnt(0)
	s_and_b32 s24, s5, 0xffff
	s_ashr_i32 s5, s4, 31
	s_lshl_b64 s[30:31], s[68:69], 2
	s_lshl_b64 s[4:5], s[4:5], 2
	s_add_u32 s48, s30, s4
	s_addc_u32 s49, s31, s5
	s_add_u32 s25, s19, s48
	s_addc_u32 s29, s8, s49
	s_lshl_b32 s53, s66, 1
	s_add_i32 s30, s53, -2
	s_ashr_i32 s31, s30, 31
	s_lshl_b64 s[62:63], s[30:31], 2
	s_ashr_i32 s61, s60, 31
	s_or_b32 s62, s62, 4
	s_lshl_b64 s[4:5], s[60:61], 2
	s_add_u32 s4, s48, s4
	s_addc_u32 s5, s49, s5
	s_sub_u32 s4, s4, s64
	s_subb_u32 s5, s5, s65
	v_readlane_b32 s48, v31, 18
	s_add_u32 s48, s48, s4
	v_readlane_b32 s4, v31, 19
	s_addc_u32 s49, s4, s5
	s_add_i32 s53, s53, s21
	v_add_u32_e32 v2, s21, v16
	s_mul_i32 s52, s43, s24
	s_not_b64 s[60:61], s[30:31]
	v_add_u32_e32 v4, s53, v17
	s_or_b32 s30, s30, 1
	s_mov_b64 s[64:65], 0
	v_mov_b32_e32 v20, v0
	s_branch .LBB7_176
.LBB7_175:                              ;   in Loop: Header=BB7_176 Depth=2
	v_lshlrev_b64 v[6:7], 2, v[6:7]
	v_mov_b32_e32 v3, s11
	v_add_co_u32_e32 v6, vcc, s9, v6
	v_addc_co_u32_e32 v7, vcc, v3, v7, vcc
	v_add_u32_e32 v20, s24, v20
	v_cmp_le_i32_e32 vcc, s39, v20
	v_add_u32_e32 v2, s52, v2
	s_or_b64 s[64:65], vcc, s[64:65]
	v_add_u32_e32 v4, s52, v4
	s_waitcnt vmcnt(0) lgkmcnt(0)
	flat_store_dword v[6:7], v21
	s_andn2_b64 exec, exec, s[64:65]
	s_cbranch_execz .LBB7_9
.LBB7_176:                              ;   Parent Loop BB7_11 Depth=1
                                        ; =>  This Loop Header: Depth=2
                                        ;       Child Loop BB7_178 Depth 3
	v_mul_lo_u32 v3, v20, s43
	v_add_u32_e32 v6, s21, v3
	v_ashrrev_i32_e32 v7, 31, v6
	v_lshlrev_b64 v[22:23], 2, v[6:7]
	v_mov_b32_e32 v3, s11
	v_add_co_u32_e32 v22, vcc, s9, v22
	v_addc_co_u32_e32 v23, vcc, v3, v23, vcc
	flat_load_dword v21, v[22:23]
	s_andn2_b64 vcc, exec, s[14:15]
	s_cbranch_vccnz .LBB7_175
; %bb.177:                              ;   in Loop: Header=BB7_176 Depth=2
	v_ashrrev_i32_e32 v3, 31, v2
	v_lshlrev_b64 v[6:7], 2, v[2:3]
	v_mov_b32_e32 v23, s11
	v_add_co_u32_e32 v3, vcc, s9, v6
	v_addc_co_u32_e32 v22, vcc, v23, v7, vcc
	v_ashrrev_i32_e32 v5, 31, v4
	v_mov_b32_e32 v7, s61
	v_add_co_u32_e32 v6, vcc, s60, v4
	v_addc_co_u32_e32 v7, vcc, v7, v5, vcc
	v_lshlrev_b64 v[24:25], 2, v[4:5]
	v_add_co_u32_e32 v5, vcc, s9, v24
	v_addc_co_u32_e32 v23, vcc, v23, v25, vcc
	s_mov_b64 s[66:67], 0
	s_mov_b32 s53, s28
.LBB7_178:                              ;   Parent Loop BB7_11 Depth=1
                                        ;     Parent Loop BB7_176 Depth=2
                                        ; =>    This Inner Loop Header: Depth=3
	s_add_u32 s4, s25, s66
	s_addc_u32 s5, s29, s67
	v_mov_b32_e32 v26, s67
	v_add_co_u32_e32 v24, vcc, s66, v5
	s_add_u32 s54, s48, s66
	v_addc_co_u32_e32 v25, vcc, v23, v26, vcc
	s_addc_u32 s55, s49, s67
	flat_load_dword v27, v[24:25]
	global_load_dword v28, v9, s[4:5] offset:16
	global_load_dword v29, v9, s[54:55]
	v_add_co_u32_e64 v24, s[4:5], s66, v3
	s_add_i32 s53, s53, -1
	v_addc_co_u32_e64 v25, s[4:5], v22, v26, s[4:5]
	s_add_u32 s66, s66, s62
	v_mov_b32_e32 v30, s31
	v_add_co_u32_e32 v6, vcc, s30, v6
	s_addc_u32 s67, s67, s63
	v_addc_co_u32_e32 v7, vcc, v7, v30, vcc
	s_cmp_eq_u32 s53, 0
	s_waitcnt vmcnt(0) lgkmcnt(0)
	v_mul_f32_e32 v26, v27, v29
	v_fma_f32 v26, v21, v28, -v26
	v_mul_f32_e32 v21, v21, v29
	v_fmac_f32_e32 v21, v27, v28
	flat_store_dword v[24:25], v26
	s_cbranch_scc0 .LBB7_178
	s_branch .LBB7_175
.LBB7_179:
	s_endpgm
	.section	.rodata,"a",@progbits
	.p2align	6, 0x0
	.amdhsa_kernel _ZN9rocsolver6v33100L13bdsqr_computeILi256EffPfS2_S2_EEviiiiPT1_lS4_lT2_iilT3_iilT4_iiliS3_S3_S3_S3_PiS4_ilS8_
		.amdhsa_group_segment_fixed_size 1040
		.amdhsa_private_segment_fixed_size 0
		.amdhsa_kernarg_size 440
		.amdhsa_user_sgpr_count 6
		.amdhsa_user_sgpr_private_segment_buffer 1
		.amdhsa_user_sgpr_dispatch_ptr 0
		.amdhsa_user_sgpr_queue_ptr 0
		.amdhsa_user_sgpr_kernarg_segment_ptr 1
		.amdhsa_user_sgpr_dispatch_id 0
		.amdhsa_user_sgpr_flat_scratch_init 0
		.amdhsa_user_sgpr_kernarg_preload_length 0
		.amdhsa_user_sgpr_kernarg_preload_offset 0
		.amdhsa_user_sgpr_private_segment_size 0
		.amdhsa_uses_dynamic_stack 0
		.amdhsa_system_sgpr_private_segment_wavefront_offset 0
		.amdhsa_system_sgpr_workgroup_id_x 1
		.amdhsa_system_sgpr_workgroup_id_y 1
		.amdhsa_system_sgpr_workgroup_id_z 1
		.amdhsa_system_sgpr_workgroup_info 0
		.amdhsa_system_vgpr_workitem_id 0
		.amdhsa_next_free_vgpr 32
		.amdhsa_next_free_sgpr 96
		.amdhsa_accum_offset 32
		.amdhsa_reserve_vcc 1
		.amdhsa_reserve_flat_scratch 0
		.amdhsa_float_round_mode_32 0
		.amdhsa_float_round_mode_16_64 0
		.amdhsa_float_denorm_mode_32 3
		.amdhsa_float_denorm_mode_16_64 3
		.amdhsa_dx10_clamp 1
		.amdhsa_ieee_mode 1
		.amdhsa_fp16_overflow 0
		.amdhsa_tg_split 0
		.amdhsa_exception_fp_ieee_invalid_op 0
		.amdhsa_exception_fp_denorm_src 0
		.amdhsa_exception_fp_ieee_div_zero 0
		.amdhsa_exception_fp_ieee_overflow 0
		.amdhsa_exception_fp_ieee_underflow 0
		.amdhsa_exception_fp_ieee_inexact 0
		.amdhsa_exception_int_div_zero 0
	.end_amdhsa_kernel
	.section	.text._ZN9rocsolver6v33100L13bdsqr_computeILi256EffPfS2_S2_EEviiiiPT1_lS4_lT2_iilT3_iilT4_iiliS3_S3_S3_S3_PiS4_ilS8_,"axG",@progbits,_ZN9rocsolver6v33100L13bdsqr_computeILi256EffPfS2_S2_EEviiiiPT1_lS4_lT2_iilT3_iilT4_iiliS3_S3_S3_S3_PiS4_ilS8_,comdat
.Lfunc_end7:
	.size	_ZN9rocsolver6v33100L13bdsqr_computeILi256EffPfS2_S2_EEviiiiPT1_lS4_lT2_iilT3_iilT4_iiliS3_S3_S3_S3_PiS4_ilS8_, .Lfunc_end7-_ZN9rocsolver6v33100L13bdsqr_computeILi256EffPfS2_S2_EEviiiiPT1_lS4_lT2_iilT3_iilT4_iiliS3_S3_S3_S3_PiS4_ilS8_
                                        ; -- End function
	.section	.AMDGPU.csdata,"",@progbits
; Kernel info:
; codeLenInByte = 8712
; NumSgprs: 100
; NumVgprs: 32
; NumAgprs: 0
; TotalNumVgprs: 32
; ScratchSize: 0
; MemoryBound: 0
; FloatMode: 240
; IeeeMode: 1
; LDSByteSize: 1040 bytes/workgroup (compile time only)
; SGPRBlocks: 12
; VGPRBlocks: 3
; NumSGPRsForWavesPerEU: 100
; NumVGPRsForWavesPerEU: 32
; AccumOffset: 32
; Occupancy: 8
; WaveLimiterHint : 1
; COMPUTE_PGM_RSRC2:SCRATCH_EN: 0
; COMPUTE_PGM_RSRC2:USER_SGPR: 6
; COMPUTE_PGM_RSRC2:TRAP_HANDLER: 0
; COMPUTE_PGM_RSRC2:TGID_X_EN: 1
; COMPUTE_PGM_RSRC2:TGID_Y_EN: 1
; COMPUTE_PGM_RSRC2:TGID_Z_EN: 1
; COMPUTE_PGM_RSRC2:TIDIG_COMP_CNT: 0
; COMPUTE_PGM_RSRC3_GFX90A:ACCUM_OFFSET: 7
; COMPUTE_PGM_RSRC3_GFX90A:TG_SPLIT: 0
	.section	.text._ZN9rocsolver6v33100L12bdsqr_rotateIffPfS2_S2_EEviiiiT1_iilT2_iilT3_iiliPiPT0_ilS6_,"axG",@progbits,_ZN9rocsolver6v33100L12bdsqr_rotateIffPfS2_S2_EEviiiiT1_iilT2_iilT3_iiliPiPT0_ilS6_,comdat
	.globl	_ZN9rocsolver6v33100L12bdsqr_rotateIffPfS2_S2_EEviiiiT1_iilT2_iilT3_iiliPiPT0_ilS6_ ; -- Begin function _ZN9rocsolver6v33100L12bdsqr_rotateIffPfS2_S2_EEviiiiT1_iilT2_iilT3_iiliPiPT0_ilS6_
	.p2align	8
	.type	_ZN9rocsolver6v33100L12bdsqr_rotateIffPfS2_S2_EEviiiiT1_iilT2_iilT3_iiliPiPT0_ilS6_,@function
_ZN9rocsolver6v33100L12bdsqr_rotateIffPfS2_S2_EEviiiiT1_iilT2_iilT3_iiliPiPT0_ilS6_: ; @_ZN9rocsolver6v33100L12bdsqr_rotateIffPfS2_S2_EEviiiiT1_iilT2_iilT3_iiliPiPT0_ilS6_
; %bb.0:
	s_load_dwordx4 s[0:3], s[4:5], 0x78
	s_ashr_i32 s9, s8, 31
	s_lshl_b64 s[10:11], s[8:9], 2
	s_waitcnt lgkmcnt(0)
	s_add_u32 s2, s2, s10
	s_addc_u32 s3, s3, s11
	s_load_dword s2, s[2:3], 0x8
	s_waitcnt lgkmcnt(0)
	s_cmp_lg_u32 s2, 0
	s_cbranch_scc1 .LBB8_25
; %bb.1:
	s_load_dwordx8 s[12:19], s[4:5], 0x10
	s_add_u32 s24, s4, 0x88
	s_addc_u32 s25, s5, 0
	s_mov_b64 s[2:3], 0
	s_mov_b64 s[10:11], 0
	s_waitcnt lgkmcnt(0)
	s_cmp_eq_u64 s[12:13], 0
	s_cbranch_scc1 .LBB8_3
; %bb.2:
	s_ashr_i32 s11, s14, 31
	s_mov_b32 s10, s14
	s_mul_i32 s14, s8, s17
	s_mul_hi_u32 s17, s8, s16
	s_add_i32 s14, s17, s14
	s_mul_i32 s17, s9, s16
	s_add_i32 s17, s14, s17
	s_mul_i32 s16, s8, s16
	s_lshl_b64 s[16:17], s[16:17], 2
	s_add_u32 s12, s12, s16
	s_addc_u32 s13, s13, s17
	s_lshl_b64 s[10:11], s[10:11], 2
	s_add_u32 s10, s12, s10
	s_addc_u32 s11, s13, s11
.LBB8_3:
	s_load_dwordx2 s[12:13], s[4:5], 0x30
	s_load_dwordx4 s[20:23], s[4:5], 0x38
	s_cmp_eq_u64 s[18:19], 0
	s_cbranch_scc1 .LBB8_5
; %bb.4:
	s_waitcnt lgkmcnt(0)
	s_ashr_i32 s3, s12, 31
	s_mov_b32 s2, s12
	s_mul_i32 s12, s8, s21
	s_mul_hi_u32 s14, s8, s20
	s_add_i32 s12, s14, s12
	s_mul_i32 s14, s9, s20
	s_add_i32 s17, s12, s14
	s_mul_i32 s16, s8, s20
	s_lshl_b64 s[16:17], s[16:17], 2
	s_add_u32 s12, s18, s16
	s_addc_u32 s14, s19, s17
	s_lshl_b64 s[2:3], s[2:3], 2
	s_add_u32 s2, s12, s2
	s_addc_u32 s3, s14, s3
.LBB8_5:
	s_load_dwordx2 s[26:27], s[4:5], 0x48
	s_waitcnt lgkmcnt(0)
	s_cmp_eq_u64 s[22:23], 0
	s_mov_b64 s[20:21], 0
	s_cbranch_scc1 .LBB8_7
; %bb.6:
	s_load_dwordx2 s[16:17], s[4:5], 0x50
	s_ashr_i32 s19, s26, 31
	s_mov_b32 s18, s26
	s_waitcnt lgkmcnt(0)
	s_mul_i32 s12, s8, s17
	s_mul_hi_u32 s14, s8, s16
	s_mul_i32 s17, s9, s16
	s_add_i32 s12, s14, s12
	s_add_i32 s17, s12, s17
	s_mul_i32 s16, s8, s16
	s_lshl_b64 s[16:17], s[16:17], 2
	s_add_u32 s12, s22, s16
	s_addc_u32 s14, s23, s17
	s_lshl_b64 s[16:17], s[18:19], 2
	s_add_u32 s20, s12, s16
	s_addc_u32 s21, s14, s17
.LBB8_7:
	s_load_dwordx4 s[16:19], s[4:5], 0x60
	s_mul_i32 s1, s8, s1
	s_mul_hi_u32 s12, s8, s0
	s_add_i32 s1, s12, s1
	s_mul_i32 s9, s9, s0
	s_add_i32 s1, s1, s9
	s_mul_i32 s0, s8, s0
	s_lshl_b64 s[22:23], s[0:1], 2
	s_waitcnt lgkmcnt(0)
	s_add_u32 s0, s18, s22
	s_addc_u32 s1, s19, s23
	s_load_dword s0, s[0:1], 0x8
	s_waitcnt lgkmcnt(0)
	v_cvt_i32_f32_e32 v4, s0
	v_cmp_ge_i32_e32 vcc, s7, v4
	s_cbranch_vccnz .LBB8_25
; %bb.8:
	s_load_dwordx4 s[28:31], s[4:5], 0x0
	s_load_dword s12, s[4:5], 0x58
	s_load_dword s9, s[4:5], 0x94
	;; [unrolled: 1-line block ×3, first 2 shown]
	v_mov_b32_e32 v8, 0
	s_waitcnt lgkmcnt(0)
	s_mul_i32 s0, s8, s28
	s_lshl_b32 s0, s0, 1
	s_ashr_i32 s1, s0, 31
	s_lshl_b64 s[0:1], s[0:1], 2
	s_add_u32 s36, s16, s0
	s_addc_u32 s37, s17, s1
	s_and_b32 s0, 0xffff, s9
	s_mul_i32 s6, s6, s0
	s_cmp_eq_u32 s29, 0
	v_add_u32_e32 v5, s6, v0
	s_cselect_b64 s[0:1], -1, 0
	s_cmp_lg_u64 s[10:11], 0
	s_cselect_b64 s[4:5], -1, 0
	v_cmp_gt_i32_e32 vcc, s29, v5
	s_and_b64 s[4:5], vcc, s[4:5]
	s_cmp_lg_u64 s[2:3], 0
	s_cselect_b64 s[8:9], -1, 0
	v_cmp_gt_i32_e32 vcc, s30, v5
	s_and_b64 s[8:9], vcc, s[8:9]
	s_cmp_lg_u64 s[20:21], 0
	v_mul_lo_u32 v6, v5, s15
	s_cselect_b64 s[14:15], -1, 0
	v_cmp_gt_i32_e32 vcc, s31, v5
	s_and_b64 s[14:15], vcc, s[14:15]
	s_load_dword s6, s[24:25], 0x4
	s_add_u32 s38, s18, s22
	s_addc_u32 s39, s19, s23
	s_add_u32 s40, s38, 20
	v_mul_lo_u32 v7, v5, s27
	s_addc_u32 s41, s39, 0
	s_branch .LBB8_12
.LBB8_9:                                ;   in Loop: Header=BB8_12 Depth=1
	v_mov_b32_e32 v0, s23
	v_subrev_co_u32_e32 v1, vcc, s22, v2
	s_add_u32 s16, s18, s20
	v_subb_co_u32_e32 v2, vcc, v3, v0, vcc
	s_addc_u32 s17, s19, s21
	v_mov_b32_e32 v3, s17
	v_add_co_u32_e32 v0, vcc, s16, v1
	v_addc_co_u32_e32 v1, vcc, v3, v2, vcc
	flat_store_dword v[0:1], v9
.LBB8_10:                               ;   in Loop: Header=BB8_12 Depth=1
	s_or_b64 exec, exec, s[28:29]
.LBB8_11:                               ;   in Loop: Header=BB8_12 Depth=1
	s_add_i32 s7, s6, s7
	v_cmp_lt_i32_e32 vcc, s7, v4
	s_cbranch_vccz .LBB8_25
.LBB8_12:                               ; =>This Loop Header: Depth=1
                                        ;     Child Loop BB8_16 Depth 2
                                        ;     Child Loop BB8_20 Depth 2
	;; [unrolled: 1-line block ×3, first 2 shown]
	s_lshl_b32 s16, s7, 2
	s_ashr_i32 s17, s16, 31
	s_lshl_b64 s[16:17], s[16:17], 2
	s_add_u32 s16, s36, s16
	s_addc_u32 s17, s37, s17
	s_load_dwordx2 s[18:19], s[16:17], 0x0
	s_load_dword s24, s[16:17], 0x8
	s_waitcnt lgkmcnt(0)
	s_cmp_le_i32 s24, s19
	s_cbranch_scc1 .LBB8_11
; %bb.13:                               ;   in Loop: Header=BB8_12 Depth=1
	s_load_dword s16, s[16:17], 0xc
	s_waitcnt lgkmcnt(0)
	s_cmp_lt_i32 s16, s12
	s_cselect_b64 s[16:17], -1, 0
	s_cmp_lg_u32 s18, 0
	s_cselect_b64 s[22:23], -1, 0
	s_and_b64 s[16:17], s[16:17], s[22:23]
	s_andn2_b64 vcc, exec, s[16:17]
	s_cbranch_vccnz .LBB8_11
; %bb.14:                               ;   in Loop: Header=BB8_12 Depth=1
	s_mul_i32 s22, s19, s33
	s_ashr_i32 s23, s22, 31
	s_cmp_gt_i32 s18, 0
	s_cselect_b64 s[26:27], -1, 0
	s_sub_i32 s16, s24, s19
	s_and_saveexec_b64 s[28:29], s[4:5]
	s_cbranch_execz .LBB8_18
; %bb.15:                               ;   in Loop: Header=BB8_12 Depth=1
	s_and_b64 s[30:31], s[26:27], exec
	s_cselect_b32 s17, s19, s24
	v_add_u32_e32 v2, s17, v6
	v_ashrrev_i32_e32 v3, 31, v2
	v_lshlrev_b64 v[0:1], 2, v[2:3]
	v_mov_b32_e32 v11, s11
	v_add_co_u32_e32 v0, vcc, s10, v0
	v_addc_co_u32_e32 v1, vcc, v11, v1, vcc
	flat_load_dword v9, v[0:1]
	s_add_i32 s17, s16, -1
	s_and_b64 s[30:31], s[26:27], exec
	s_cselect_b32 s30, 0, s17
	s_ashr_i32 s31, s30, 31
	s_lshl_b64 s[30:31], s[30:31], 2
	s_lshl_b64 s[34:35], s[22:23], 2
	s_add_u32 s43, s30, s34
	s_addc_u32 s44, s31, s35
	s_add_u32 s17, s38, s43
	s_addc_u32 s42, s39, s44
	s_ashr_i32 s31, s18, 31
	s_mov_b32 s30, s18
	s_ashr_i32 s25, s24, 31
	s_lshl_b64 s[30:31], s[30:31], 2
	s_lshl_b64 s[34:35], s[24:25], 2
	s_add_u32 s25, s43, s34
	s_addc_u32 s43, s44, s35
	s_ashr_i32 s35, s19, 31
	s_mov_b32 s34, s19
	s_lshl_b64 s[34:35], s[34:35], 2
	v_add_u32_e32 v2, s18, v2
	s_sub_u32 s25, s25, s34
	v_ashrrev_i32_e32 v3, 31, v2
	s_subb_u32 s34, s43, s35
	v_lshlrev_b64 v[2:3], 2, v[2:3]
	s_add_u32 s25, s40, s25
	v_add_co_u32_e32 v10, vcc, s10, v2
	s_addc_u32 s43, s41, s34
	v_addc_co_u32_e32 v11, vcc, v11, v3, vcc
	s_mov_b64 s[34:35], 0
	s_mov_b32 s44, s16
.LBB8_16:                               ;   Parent Loop BB8_12 Depth=1
                                        ; =>  This Inner Loop Header: Depth=2
	s_add_u32 s46, s17, s34
	s_addc_u32 s47, s42, s35
	v_mov_b32_e32 v14, s35
	v_add_co_u32_e32 v12, vcc, s34, v10
	s_add_u32 s48, s25, s34
	v_addc_co_u32_e32 v13, vcc, v11, v14, vcc
	s_addc_u32 s49, s43, s35
	flat_load_dword v15, v[12:13]
	global_load_dword v16, v8, s[46:47] offset:16
	global_load_dword v17, v8, s[48:49]
	v_add_co_u32_e32 v12, vcc, s34, v0
	s_add_i32 s44, s44, -1
	v_addc_co_u32_e32 v13, vcc, v1, v14, vcc
	s_add_u32 s34, s34, s30
	s_addc_u32 s35, s35, s31
	s_cmp_eq_u32 s44, 0
	s_waitcnt vmcnt(0) lgkmcnt(0)
	v_mul_f32_e32 v14, v15, v17
	v_fma_f32 v14, v9, v16, -v14
	v_mul_f32_e32 v9, v9, v17
	v_fmac_f32_e32 v9, v15, v16
	flat_store_dword v[12:13], v14
	s_cbranch_scc0 .LBB8_16
; %bb.17:                               ;   in Loop: Header=BB8_12 Depth=1
	v_mov_b32_e32 v0, s31
	v_subrev_co_u32_e32 v1, vcc, s30, v2
	s_add_u32 s17, s34, s10
	v_subb_co_u32_e32 v2, vcc, v3, v0, vcc
	s_addc_u32 s25, s35, s11
	v_mov_b32_e32 v3, s25
	v_add_co_u32_e32 v0, vcc, s17, v1
	v_addc_co_u32_e32 v1, vcc, v3, v2, vcc
	flat_store_dword v[0:1], v9
.LBB8_18:                               ;   in Loop: Header=BB8_12 Depth=1
	s_or_b64 exec, exec, s[28:29]
	s_lshl_b32 s17, s16, 1
	s_add_i32 s17, s17, 2
	s_and_b64 s[28:29], s[0:1], exec
	s_cselect_b32 s25, 0, s17
	s_and_saveexec_b64 s[28:29], s[8:9]
	s_cbranch_execz .LBB8_22
; %bb.19:                               ;   in Loop: Header=BB8_12 Depth=1
	s_and_b64 s[30:31], s[26:27], exec
	s_cselect_b32 s46, s19, s24
	s_mul_i32 s42, s46, s13
	v_add_u32_e32 v0, s42, v5
	v_ashrrev_i32_e32 v1, 31, v0
	v_lshlrev_b64 v[0:1], 2, v[0:1]
	v_mov_b32_e32 v2, s3
	v_add_co_u32_e32 v0, vcc, s2, v0
	v_addc_co_u32_e32 v1, vcc, v2, v1, vcc
	flat_load_dword v2, v[0:1]
	s_add_i32 s17, s16, -1
	s_and_b64 s[30:31], s[26:27], exec
	s_cselect_b32 s17, 0, s17
	s_add_i32 s30, s25, s17
	s_ashr_i32 s31, s30, 31
	s_ashr_i32 s17, s16, 31
	s_lshl_b64 s[34:35], s[22:23], 2
	s_lshl_b64 s[30:31], s[30:31], 2
	s_add_u32 s30, s34, s30
	s_addc_u32 s31, s35, s31
	s_add_u32 s30, s38, s30
	s_addc_u32 s31, s39, s31
	s_ashr_i32 s35, s18, 31
	s_mov_b32 s34, s18
	s_lshl_b64 s[34:35], s[34:35], 2
	s_lshl_b64 s[44:45], s[16:17], 2
	s_add_u32 s17, s44, 20
	s_addc_u32 s43, s45, 0
	s_add_i32 s46, s46, s18
	s_mul_i32 s44, s13, s46
	s_mul_i32 s45, s13, s18
	v_mov_b32_e32 v3, v5
	s_mov_b32 s46, s16
.LBB8_20:                               ;   Parent Loop BB8_12 Depth=1
                                        ; =>  This Inner Loop Header: Depth=2
	v_add_u32_e32 v0, s44, v3
	v_ashrrev_i32_e32 v1, 31, v0
	v_lshlrev_b64 v[0:1], 2, v[0:1]
	v_mov_b32_e32 v9, s3
	s_add_u32 s48, s30, s17
	v_add_co_u32_e32 v0, vcc, s2, v0
	s_addc_u32 s49, s31, s43
	v_addc_co_u32_e32 v1, vcc, v9, v1, vcc
	global_load_dword v12, v8, s[30:31] offset:16
	global_load_dword v13, v8, s[48:49]
	flat_load_dword v14, v[0:1]
	v_add_u32_e32 v10, s42, v3
	v_ashrrev_i32_e32 v11, 31, v10
	v_lshlrev_b64 v[10:11], 2, v[10:11]
	s_add_i32 s46, s46, -1
	v_add_co_u32_e32 v10, vcc, s2, v10
	s_add_u32 s30, s30, s34
	v_addc_co_u32_e32 v11, vcc, v9, v11, vcc
	s_addc_u32 s31, s31, s35
	v_add_u32_e32 v3, s45, v3
	s_cmp_eq_u32 s46, 0
	s_waitcnt vmcnt(0) lgkmcnt(0)
	v_mul_f32_e32 v9, v14, v13
	v_fma_f32 v9, v2, v12, -v9
	v_mul_f32_e32 v2, v2, v13
	v_fmac_f32_e32 v2, v14, v12
	flat_store_dword v[10:11], v9
	s_cbranch_scc0 .LBB8_20
; %bb.21:                               ;   in Loop: Header=BB8_12 Depth=1
	flat_store_dword v[0:1], v2
.LBB8_22:                               ;   in Loop: Header=BB8_12 Depth=1
	s_or_b64 exec, exec, s[28:29]
	s_and_saveexec_b64 s[28:29], s[14:15]
	s_cbranch_execz .LBB8_10
; %bb.23:                               ;   in Loop: Header=BB8_12 Depth=1
	s_and_b64 s[30:31], s[26:27], exec
	s_cselect_b32 s17, s19, s24
	v_add_u32_e32 v2, s17, v7
	v_ashrrev_i32_e32 v3, 31, v2
	v_lshlrev_b64 v[0:1], 2, v[2:3]
	v_mov_b32_e32 v11, s21
	v_add_co_u32_e32 v0, vcc, s20, v0
	v_addc_co_u32_e32 v1, vcc, v11, v1, vcc
	flat_load_dword v9, v[0:1]
	s_add_i32 s17, s16, -1
	s_and_b64 s[26:27], s[26:27], exec
	s_cselect_b32 s17, 0, s17
	s_add_i32 s24, s25, s17
	s_ashr_i32 s25, s24, 31
	s_ashr_i32 s17, s16, 31
	s_lshl_b64 s[22:23], s[22:23], 2
	s_lshl_b64 s[24:25], s[24:25], 2
	s_add_u32 s30, s22, s24
	s_addc_u32 s31, s23, s25
	s_add_u32 s24, s38, s30
	s_addc_u32 s25, s39, s31
	s_ashr_i32 s19, s18, 31
	s_lshl_b64 s[22:23], s[18:19], 2
	s_lshl_b64 s[26:27], s[16:17], 2
	v_add_u32_e32 v2, s18, v2
	s_add_u32 s17, s30, s26
	v_ashrrev_i32_e32 v3, 31, v2
	s_addc_u32 s19, s31, s27
	v_lshlrev_b64 v[2:3], 2, v[2:3]
	s_add_u32 s17, s40, s17
	v_add_co_u32_e32 v10, vcc, s20, v2
	s_addc_u32 s26, s41, s19
	v_addc_co_u32_e32 v11, vcc, v11, v3, vcc
	s_mov_b64 s[18:19], 0
.LBB8_24:                               ;   Parent Loop BB8_12 Depth=1
                                        ; =>  This Inner Loop Header: Depth=2
	s_add_u32 s30, s24, s18
	s_addc_u32 s31, s25, s19
	v_mov_b32_e32 v14, s19
	v_add_co_u32_e32 v12, vcc, s18, v10
	s_add_u32 s34, s17, s18
	v_addc_co_u32_e32 v13, vcc, v11, v14, vcc
	s_addc_u32 s35, s26, s19
	flat_load_dword v15, v[12:13]
	global_load_dword v16, v8, s[30:31] offset:16
	global_load_dword v17, v8, s[34:35]
	v_add_co_u32_e32 v12, vcc, s18, v0
	s_add_i32 s16, s16, -1
	v_addc_co_u32_e32 v13, vcc, v1, v14, vcc
	s_add_u32 s18, s18, s22
	s_addc_u32 s19, s19, s23
	s_cmp_eq_u32 s16, 0
	s_waitcnt vmcnt(0) lgkmcnt(0)
	v_mul_f32_e32 v14, v15, v17
	v_fma_f32 v14, v9, v16, -v14
	v_mul_f32_e32 v9, v9, v17
	v_fmac_f32_e32 v9, v15, v16
	flat_store_dword v[12:13], v14
	s_cbranch_scc0 .LBB8_24
	s_branch .LBB8_9
.LBB8_25:
	s_endpgm
	.section	.rodata,"a",@progbits
	.p2align	6, 0x0
	.amdhsa_kernel _ZN9rocsolver6v33100L12bdsqr_rotateIffPfS2_S2_EEviiiiT1_iilT2_iilT3_iiliPiPT0_ilS6_
		.amdhsa_group_segment_fixed_size 0
		.amdhsa_private_segment_fixed_size 0
		.amdhsa_kernarg_size 392
		.amdhsa_user_sgpr_count 6
		.amdhsa_user_sgpr_private_segment_buffer 1
		.amdhsa_user_sgpr_dispatch_ptr 0
		.amdhsa_user_sgpr_queue_ptr 0
		.amdhsa_user_sgpr_kernarg_segment_ptr 1
		.amdhsa_user_sgpr_dispatch_id 0
		.amdhsa_user_sgpr_flat_scratch_init 0
		.amdhsa_user_sgpr_kernarg_preload_length 0
		.amdhsa_user_sgpr_kernarg_preload_offset 0
		.amdhsa_user_sgpr_private_segment_size 0
		.amdhsa_uses_dynamic_stack 0
		.amdhsa_system_sgpr_private_segment_wavefront_offset 0
		.amdhsa_system_sgpr_workgroup_id_x 1
		.amdhsa_system_sgpr_workgroup_id_y 1
		.amdhsa_system_sgpr_workgroup_id_z 1
		.amdhsa_system_sgpr_workgroup_info 0
		.amdhsa_system_vgpr_workitem_id 0
		.amdhsa_next_free_vgpr 18
		.amdhsa_next_free_sgpr 50
		.amdhsa_accum_offset 20
		.amdhsa_reserve_vcc 1
		.amdhsa_reserve_flat_scratch 0
		.amdhsa_float_round_mode_32 0
		.amdhsa_float_round_mode_16_64 0
		.amdhsa_float_denorm_mode_32 3
		.amdhsa_float_denorm_mode_16_64 3
		.amdhsa_dx10_clamp 1
		.amdhsa_ieee_mode 1
		.amdhsa_fp16_overflow 0
		.amdhsa_tg_split 0
		.amdhsa_exception_fp_ieee_invalid_op 0
		.amdhsa_exception_fp_denorm_src 0
		.amdhsa_exception_fp_ieee_div_zero 0
		.amdhsa_exception_fp_ieee_overflow 0
		.amdhsa_exception_fp_ieee_underflow 0
		.amdhsa_exception_fp_ieee_inexact 0
		.amdhsa_exception_int_div_zero 0
	.end_amdhsa_kernel
	.section	.text._ZN9rocsolver6v33100L12bdsqr_rotateIffPfS2_S2_EEviiiiT1_iilT2_iilT3_iiliPiPT0_ilS6_,"axG",@progbits,_ZN9rocsolver6v33100L12bdsqr_rotateIffPfS2_S2_EEviiiiT1_iilT2_iilT3_iiliPiPT0_ilS6_,comdat
.Lfunc_end8:
	.size	_ZN9rocsolver6v33100L12bdsqr_rotateIffPfS2_S2_EEviiiiT1_iilT2_iilT3_iiliPiPT0_ilS6_, .Lfunc_end8-_ZN9rocsolver6v33100L12bdsqr_rotateIffPfS2_S2_EEviiiiT1_iilT2_iilT3_iiliPiPT0_ilS6_
                                        ; -- End function
	.section	.AMDGPU.csdata,"",@progbits
; Kernel info:
; codeLenInByte = 1664
; NumSgprs: 54
; NumVgprs: 18
; NumAgprs: 0
; TotalNumVgprs: 18
; ScratchSize: 0
; MemoryBound: 0
; FloatMode: 240
; IeeeMode: 1
; LDSByteSize: 0 bytes/workgroup (compile time only)
; SGPRBlocks: 6
; VGPRBlocks: 2
; NumSGPRsForWavesPerEU: 54
; NumVGPRsForWavesPerEU: 18
; AccumOffset: 20
; Occupancy: 8
; WaveLimiterHint : 1
; COMPUTE_PGM_RSRC2:SCRATCH_EN: 0
; COMPUTE_PGM_RSRC2:USER_SGPR: 6
; COMPUTE_PGM_RSRC2:TRAP_HANDLER: 0
; COMPUTE_PGM_RSRC2:TGID_X_EN: 1
; COMPUTE_PGM_RSRC2:TGID_Y_EN: 1
; COMPUTE_PGM_RSRC2:TGID_Z_EN: 1
; COMPUTE_PGM_RSRC2:TIDIG_COMP_CNT: 0
; COMPUTE_PGM_RSRC3_GFX90A:ACCUM_OFFSET: 4
; COMPUTE_PGM_RSRC3_GFX90A:TG_SPLIT: 0
	.section	.text._ZN9rocsolver6v33100L22bdsqr_update_endpointsIffEEviPT0_lPiS3_lS4_,"axG",@progbits,_ZN9rocsolver6v33100L22bdsqr_update_endpointsIffEEviPT0_lPiS3_lS4_,comdat
	.globl	_ZN9rocsolver6v33100L22bdsqr_update_endpointsIffEEviPT0_lPiS3_lS4_ ; -- Begin function _ZN9rocsolver6v33100L22bdsqr_update_endpointsIffEEviPT0_lPiS3_lS4_
	.p2align	8
	.type	_ZN9rocsolver6v33100L22bdsqr_update_endpointsIffEEviPT0_lPiS3_lS4_,@function
_ZN9rocsolver6v33100L22bdsqr_update_endpointsIffEEviPT0_lPiS3_lS4_: ; @_ZN9rocsolver6v33100L22bdsqr_update_endpointsIffEEviPT0_lPiS3_lS4_
; %bb.0:
	s_load_dwordx4 s[0:3], s[4:5], 0x28
	s_ashr_i32 s9, s8, 31
	s_lshl_b64 s[10:11], s[8:9], 2
	s_waitcnt lgkmcnt(0)
	s_add_u32 s2, s2, s10
	s_addc_u32 s3, s3, s11
	s_load_dword s2, s[2:3], 0x8
	s_waitcnt lgkmcnt(0)
	s_cmp_lg_u32 s2, 0
	s_cbranch_scc1 .LBB9_31
; %bb.1:
	s_load_dwordx8 s[12:19], s[4:5], 0x8
	s_mul_i32 s1, s8, s1
	s_mul_hi_u32 s2, s8, s0
	s_add_i32 s1, s2, s1
	s_mul_i32 s2, s9, s0
	s_add_i32 s1, s1, s2
	s_mul_i32 s0, s8, s0
	s_lshl_b64 s[0:1], s[0:1], 2
	s_waitcnt lgkmcnt(0)
	s_add_u32 s2, s18, s0
	s_addc_u32 s3, s19, s1
	s_load_dwordx2 s[10:11], s[2:3], 0x4
	s_waitcnt lgkmcnt(0)
	v_cvt_i32_f32_e32 v4, s11
	v_cmp_ge_i32_e32 vcc, s7, v4
	s_cbranch_vccnz .LBB9_31
; %bb.2:
	s_mul_i32 s0, s8, s15
	s_mul_hi_u32 s1, s8, s14
	s_add_i32 s0, s1, s0
	s_mul_i32 s1, s9, s14
	s_load_dword s9, s[4:5], 0x0
	s_load_dword s18, s[4:5], 0x3c
	s_add_i32 s1, s0, s1
	s_mul_i32 s0, s8, s14
	s_lshl_b64 s[0:1], s[0:1], 2
	s_add_u32 s6, s12, s0
	s_waitcnt lgkmcnt(0)
	s_mul_i32 s0, s8, s9
	s_addc_u32 s11, s13, s1
	s_lshl_b32 s0, s0, 1
	s_ashr_i32 s1, s0, 31
	s_lshl_b64 s[0:1], s[0:1], 2
	s_add_u32 s19, s16, s0
	v_cvt_f32_i32_e32 v5, v4
	s_addc_u32 s20, s17, s1
	s_add_u32 s21, s6, -4
	s_addc_u32 s22, s11, -1
	v_mov_b32_e32 v6, 0
	s_branch .LBB9_4
.LBB9_3:                                ;   in Loop: Header=BB9_4 Depth=1
	s_add_i32 s7, s18, s7
	v_cmp_lt_i32_e32 vcc, s7, v4
	v_mov_b32_e32 v0, s23
	v_mov_b32_e32 v1, s16
	global_store_dwordx2 v6, v[0:1], s[4:5] offset:4
	s_cbranch_vccz .LBB9_31
.LBB9_4:                                ; =>This Loop Header: Depth=1
                                        ;     Child Loop BB9_9 Depth 2
                                        ;     Child Loop BB9_14 Depth 2
	;; [unrolled: 1-line block ×3, first 2 shown]
                                        ;       Child Loop BB9_26 Depth 3
	s_lshl_b32 s0, s7, 2
	s_ashr_i32 s1, s0, 31
	s_lshl_b64 s[0:1], s[0:1], 2
	s_add_u32 s4, s19, s0
	s_addc_u32 s5, s20, s1
	global_load_dwordx4 v[0:3], v6, s[4:5]
	s_waitcnt vmcnt(0)
	v_readfirstlane_b32 s0, v0
	s_cmp_eq_u32 s0, 0
	s_cselect_b64 s[0:1], -1, 0
	v_readfirstlane_b32 s12, v1
	v_readfirstlane_b32 s8, v2
	s_and_b64 vcc, exec, s[0:1]
	v_mov_b32_e32 v2, v3
	s_cbranch_vccnz .LBB9_6
; %bb.5:                                ;   in Loop: Header=BB9_4 Depth=1
	s_sub_i32 s9, s8, s12
	v_add_u32_e32 v2, s9, v3
	global_store_dword v6, v2, s[4:5] offset:12
.LBB9_6:                                ;   in Loop: Header=BB9_4 Depth=1
	s_cmp_le_i32 s8, s12
	s_cbranch_scc1 .LBB9_16
; %bb.7:                                ;   in Loop: Header=BB9_4 Depth=1
	s_ashr_i32 s13, s12, 31
	s_lshl_b64 s[14:15], s[12:13], 2
	s_add_u32 s14, s6, s14
	s_addc_u32 s15, s11, s15
	s_branch .LBB9_9
.LBB9_8:                                ;   in Loop: Header=BB9_9 Depth=2
	s_add_i32 s12, s12, 1
	global_store_dword v6, v6, s[14:15]
	s_add_u32 s14, s14, 4
	s_addc_u32 s15, s15, 0
	s_cmp_ge_i32 s12, s8
	s_cselect_b64 s[16:17], -1, 0
	s_mov_b32 s23, s8
	s_andn2_b64 vcc, exec, s[16:17]
	s_cbranch_vccz .LBB9_11
.LBB9_9:                                ;   Parent Loop BB9_4 Depth=1
                                        ; =>  This Inner Loop Header: Depth=2
	global_load_dword v0, v6, s[14:15]
	s_mov_b64 s[16:17], -1
	s_waitcnt vmcnt(0)
	v_cmp_nlt_f32_e64 s[24:25], |v0|, s10
	s_and_b64 vcc, exec, s[24:25]
	s_cbranch_vccz .LBB9_8
; %bb.10:                               ;   in Loop: Header=BB9_9 Depth=2
	s_mov_b32 s23, s12
                                        ; implicit-def: $sgpr12
                                        ; implicit-def: $sgpr14_sgpr15
	s_andn2_b64 vcc, exec, s[16:17]
	s_cbranch_vccnz .LBB9_9
.LBB9_11:                               ;   in Loop: Header=BB9_4 Depth=1
	s_cmp_le_i32 s8, s23
	s_cbranch_scc1 .LBB9_17
.LBB9_12:                               ;   in Loop: Header=BB9_4 Depth=1
	s_ashr_i32 s9, s8, 31
	s_lshl_b64 s[12:13], s[8:9], 2
	s_add_u32 s12, s21, s12
	s_addc_u32 s13, s22, s13
	s_branch .LBB9_14
.LBB9_13:                               ;   in Loop: Header=BB9_14 Depth=2
	s_add_i32 s8, s8, -1
	global_store_dword v6, v6, s[12:13]
	s_add_u32 s12, s12, -4
	s_addc_u32 s13, s13, -1
	s_cmp_le_i32 s8, s23
	s_cselect_b64 s[14:15], -1, 0
	s_mov_b32 s16, s23
	s_andn2_b64 vcc, exec, s[14:15]
	s_cbranch_vccz .LBB9_18
.LBB9_14:                               ;   Parent Loop BB9_4 Depth=1
                                        ; =>  This Inner Loop Header: Depth=2
	global_load_dword v0, v6, s[12:13]
	s_mov_b64 s[14:15], -1
	s_waitcnt vmcnt(0)
	v_cmp_nlt_f32_e64 s[16:17], |v0|, s10
	s_and_b64 vcc, exec, s[16:17]
	s_cbranch_vccz .LBB9_13
; %bb.15:                               ;   in Loop: Header=BB9_14 Depth=2
	s_mov_b32 s16, s8
                                        ; implicit-def: $sgpr8
                                        ; implicit-def: $sgpr12_sgpr13
	s_andn2_b64 vcc, exec, s[14:15]
	s_cbranch_vccnz .LBB9_14
	s_branch .LBB9_18
.LBB9_16:                               ;   in Loop: Header=BB9_4 Depth=1
	s_mov_b32 s23, s12
	s_cmp_le_i32 s8, s23
	s_cbranch_scc0 .LBB9_12
.LBB9_17:                               ;   in Loop: Header=BB9_4 Depth=1
	s_mov_b32 s16, s8
.LBB9_18:                               ;   in Loop: Header=BB9_4 Depth=1
	s_cmp_lt_i32 s23, s16
	s_cselect_b64 s[8:9], -1, 0
	s_and_b64 s[0:1], s[0:1], s[8:9]
	s_andn2_b64 vcc, exec, s[0:1]
	s_mov_b32 s8, s23
	s_cbranch_vccnz .LBB9_3
.LBB9_19:                               ;   Parent Loop BB9_4 Depth=1
                                        ; =>  This Loop Header: Depth=2
                                        ;       Child Loop BB9_26 Depth 3
	s_ashr_i32 s9, s8, 31
	s_lshl_b64 s[0:1], s[8:9], 2
	s_add_u32 s0, s6, s0
	s_addc_u32 s1, s11, s1
	global_load_dword v0, v6, s[0:1]
	s_mov_b64 s[12:13], -1
                                        ; implicit-def: $sgpr9
	s_waitcnt vmcnt(0)
	v_cmp_lt_f32_e64 s[14:15], |v0|, s10
	s_and_b64 vcc, exec, s[14:15]
	s_cbranch_vccz .LBB9_22
; %bb.20:                               ;   in Loop: Header=BB9_19 Depth=2
	s_andn2_b64 vcc, exec, s[12:13]
	s_cbranch_vccz .LBB9_23
.LBB9_21:                               ;   in Loop: Header=BB9_19 Depth=2
	s_cmp_lt_i32 s9, s16
	s_cbranch_scc1 .LBB9_30
	s_branch .LBB9_3
.LBB9_22:                               ;   in Loop: Header=BB9_19 Depth=2
	s_add_i32 s9, s8, 1
	s_cbranch_execnz .LBB9_21
.LBB9_23:                               ;   in Loop: Header=BB9_19 Depth=2
	s_cmp_ge_i32 s23, s8
	global_store_dword v6, v6, s[0:1]
	s_cbranch_scc1 .LBB9_29
; %bb.24:                               ;   in Loop: Header=BB9_19 Depth=2
	s_mov_b64 s[0:1], exec
	v_mbcnt_lo_u32_b32 v0, s0, 0
	v_mbcnt_hi_u32_b32 v0, s1, v0
	v_cmp_eq_u32_e32 vcc, 0, v0
                                        ; implicit-def: $vgpr1
	s_and_saveexec_b64 s[12:13], vcc
	s_cbranch_execz .LBB9_28
; %bb.25:                               ;   in Loop: Header=BB9_19 Depth=2
	global_load_dword v1, v6, s[2:3] offset:12
	s_bcnt1_i32_b64 s0, s[0:1]
	v_cvt_f32_ubyte0_e32 v3, s0
	s_mov_b64 s[14:15], 0
.LBB9_26:                               ;   Parent Loop BB9_4 Depth=1
                                        ;     Parent Loop BB9_19 Depth=2
                                        ; =>    This Inner Loop Header: Depth=3
	s_waitcnt vmcnt(0)
	v_mov_b32_e32 v9, v1
	v_add_f32_e32 v8, v9, v3
	global_atomic_cmpswap v1, v6, v[8:9], s[2:3] offset:12 glc
	s_waitcnt vmcnt(0)
	v_cmp_eq_u32_e64 s[0:1], v1, v9
	s_or_b64 s[14:15], s[0:1], s[14:15]
	s_andn2_b64 exec, exec, s[14:15]
	s_cbranch_execnz .LBB9_26
; %bb.27:                               ;   in Loop: Header=BB9_19 Depth=2
	s_or_b64 exec, exec, s[14:15]
.LBB9_28:                               ;   in Loop: Header=BB9_19 Depth=2
	s_or_b64 exec, exec, s[12:13]
	v_readfirstlane_b32 s0, v1
	v_cvt_f32_ubyte0_e32 v0, v0
	v_add_f32_e32 v0, s0, v0
	v_mov_b32_e32 v1, s0
	v_cndmask_b32_e32 v0, v0, v1, vcc
	v_add_f32_e32 v0, v0, v5
	v_cvt_i32_f32_e32 v0, v0
	v_mov_b32_e32 v3, s20
	v_lshlrev_b32_e32 v0, 2, v0
	v_ashrrev_i32_e32 v1, 31, v0
	v_lshlrev_b64 v[0:1], 2, v[0:1]
	v_add_co_u32_e32 v8, vcc, s19, v0
	v_addc_co_u32_e32 v9, vcc, v3, v1, vcc
	v_mov_b32_e32 v0, s23
	v_mov_b32_e32 v1, s8
	global_store_dwordx3 v[8:9], v[0:2], off offset:4
.LBB9_29:                               ;   in Loop: Header=BB9_19 Depth=2
	s_add_i32 s9, s8, 1
	s_mov_b32 s23, s9
	s_cmp_lt_i32 s9, s16
	s_cbranch_scc0 .LBB9_3
.LBB9_30:                               ;   in Loop: Header=BB9_19 Depth=2
	s_mov_b32 s8, s9
	s_branch .LBB9_19
.LBB9_31:
	s_endpgm
	.section	.rodata,"a",@progbits
	.p2align	6, 0x0
	.amdhsa_kernel _ZN9rocsolver6v33100L22bdsqr_update_endpointsIffEEviPT0_lPiS3_lS4_
		.amdhsa_group_segment_fixed_size 0
		.amdhsa_private_segment_fixed_size 0
		.amdhsa_kernarg_size 312
		.amdhsa_user_sgpr_count 6
		.amdhsa_user_sgpr_private_segment_buffer 1
		.amdhsa_user_sgpr_dispatch_ptr 0
		.amdhsa_user_sgpr_queue_ptr 0
		.amdhsa_user_sgpr_kernarg_segment_ptr 1
		.amdhsa_user_sgpr_dispatch_id 0
		.amdhsa_user_sgpr_flat_scratch_init 0
		.amdhsa_user_sgpr_kernarg_preload_length 0
		.amdhsa_user_sgpr_kernarg_preload_offset 0
		.amdhsa_user_sgpr_private_segment_size 0
		.amdhsa_uses_dynamic_stack 0
		.amdhsa_system_sgpr_private_segment_wavefront_offset 0
		.amdhsa_system_sgpr_workgroup_id_x 1
		.amdhsa_system_sgpr_workgroup_id_y 1
		.amdhsa_system_sgpr_workgroup_id_z 1
		.amdhsa_system_sgpr_workgroup_info 0
		.amdhsa_system_vgpr_workitem_id 0
		.amdhsa_next_free_vgpr 10
		.amdhsa_next_free_sgpr 26
		.amdhsa_accum_offset 12
		.amdhsa_reserve_vcc 1
		.amdhsa_reserve_flat_scratch 0
		.amdhsa_float_round_mode_32 0
		.amdhsa_float_round_mode_16_64 0
		.amdhsa_float_denorm_mode_32 3
		.amdhsa_float_denorm_mode_16_64 3
		.amdhsa_dx10_clamp 1
		.amdhsa_ieee_mode 1
		.amdhsa_fp16_overflow 0
		.amdhsa_tg_split 0
		.amdhsa_exception_fp_ieee_invalid_op 0
		.amdhsa_exception_fp_denorm_src 0
		.amdhsa_exception_fp_ieee_div_zero 0
		.amdhsa_exception_fp_ieee_overflow 0
		.amdhsa_exception_fp_ieee_underflow 0
		.amdhsa_exception_fp_ieee_inexact 0
		.amdhsa_exception_int_div_zero 0
	.end_amdhsa_kernel
	.section	.text._ZN9rocsolver6v33100L22bdsqr_update_endpointsIffEEviPT0_lPiS3_lS4_,"axG",@progbits,_ZN9rocsolver6v33100L22bdsqr_update_endpointsIffEEviPT0_lPiS3_lS4_,comdat
.Lfunc_end9:
	.size	_ZN9rocsolver6v33100L22bdsqr_update_endpointsIffEEviPT0_lPiS3_lS4_, .Lfunc_end9-_ZN9rocsolver6v33100L22bdsqr_update_endpointsIffEEviPT0_lPiS3_lS4_
                                        ; -- End function
	.section	.AMDGPU.csdata,"",@progbits
; Kernel info:
; codeLenInByte = 892
; NumSgprs: 30
; NumVgprs: 10
; NumAgprs: 0
; TotalNumVgprs: 10
; ScratchSize: 0
; MemoryBound: 0
; FloatMode: 240
; IeeeMode: 1
; LDSByteSize: 0 bytes/workgroup (compile time only)
; SGPRBlocks: 3
; VGPRBlocks: 1
; NumSGPRsForWavesPerEU: 30
; NumVGPRsForWavesPerEU: 10
; AccumOffset: 12
; Occupancy: 8
; WaveLimiterHint : 1
; COMPUTE_PGM_RSRC2:SCRATCH_EN: 0
; COMPUTE_PGM_RSRC2:USER_SGPR: 6
; COMPUTE_PGM_RSRC2:TRAP_HANDLER: 0
; COMPUTE_PGM_RSRC2:TGID_X_EN: 1
; COMPUTE_PGM_RSRC2:TGID_Y_EN: 1
; COMPUTE_PGM_RSRC2:TGID_Z_EN: 1
; COMPUTE_PGM_RSRC2:TIDIG_COMP_CNT: 0
; COMPUTE_PGM_RSRC3_GFX90A:ACCUM_OFFSET: 2
; COMPUTE_PGM_RSRC3_GFX90A:TG_SPLIT: 0
	.section	.text._ZN9rocsolver6v33100L19bdsqr_chk_completedIffEEviiPiPT0_lS2_,"axG",@progbits,_ZN9rocsolver6v33100L19bdsqr_chk_completedIffEEviiPiPT0_lS2_,comdat
	.globl	_ZN9rocsolver6v33100L19bdsqr_chk_completedIffEEviiPiPT0_lS2_ ; -- Begin function _ZN9rocsolver6v33100L19bdsqr_chk_completedIffEEviiPiPT0_lS2_
	.p2align	8
	.type	_ZN9rocsolver6v33100L19bdsqr_chk_completedIffEEviiPiPT0_lS2_,@function
_ZN9rocsolver6v33100L19bdsqr_chk_completedIffEEviiPiPT0_lS2_: ; @_ZN9rocsolver6v33100L19bdsqr_chk_completedIffEEviiPiPT0_lS2_
; %bb.0:
	s_load_dwordx8 s[8:15], s[4:5], 0x8
	s_mov_b32 s2, s7
	s_ashr_i32 s3, s7, 31
	s_lshl_b64 s[0:1], s[2:3], 2
	s_waitcnt lgkmcnt(0)
	s_add_u32 s0, s14, s0
	s_addc_u32 s1, s15, s1
	s_load_dword s6, s[0:1], 0x8
	s_waitcnt lgkmcnt(0)
	s_cmp_lg_u32 s6, 0
	s_cbranch_scc0 .LBB10_2
.LBB10_1:
	s_endpgm
.LBB10_2:
	s_mul_i32 s6, s2, s13
	s_mul_hi_u32 s7, s2, s12
	s_add_i32 s6, s7, s6
	s_mul_i32 s3, s3, s12
	s_add_i32 s7, s6, s3
	s_mul_i32 s6, s2, s12
	s_lshl_b64 s[6:7], s[6:7], 2
	s_add_u32 s6, s10, s6
	s_addc_u32 s7, s11, s7
	s_load_dwordx2 s[10:11], s[6:7], 0x8
	s_load_dword s3, s[14:15], 0x4
	v_mov_b32_e32 v3, 0
	s_waitcnt lgkmcnt(0)
	v_mov_b32_e32 v0, s11
	v_add_f32_e32 v0, s10, v0
	v_cvt_i32_f32_e32 v0, v0
	v_cvt_f32_i32_e32 v2, v0
	v_cmp_ge_i32_e32 vcc, s3, v0
	global_store_dwordx2 v3, v[2:3], s[6:7] offset:8
	s_cbranch_vccnz .LBB10_6
; %bb.3:
	s_mov_b64 s[6:7], 0
	v_mov_b32_e32 v1, s3
.LBB10_4:                               ; =>This Inner Loop Header: Depth=1
	global_atomic_cmpswap v1, v3, v[0:1], s[14:15] offset:4 glc
	s_waitcnt vmcnt(0)
	v_cmp_ge_i32_e32 vcc, v1, v0
	s_or_b64 s[6:7], vcc, s[6:7]
	s_andn2_b64 exec, exec, s[6:7]
	s_cbranch_execnz .LBB10_4
; %bb.5:
	s_or_b64 exec, exec, s[6:7]
.LBB10_6:
	v_cmp_gt_i32_e32 vcc, 1, v0
	s_cbranch_vccnz .LBB10_14
; %bb.7:
	s_load_dwordx2 s[4:5], s[4:5], 0x0
	v_mov_b32_e32 v1, 0
	s_waitcnt lgkmcnt(0)
	s_mul_i32 s2, s2, s4
	s_lshl_b32 s2, s2, 1
	s_ashr_i32 s3, s2, 31
	s_lshl_b64 s[2:3], s[2:3], 2
	s_add_u32 s2, s2, s8
	s_addc_u32 s3, s3, s9
	s_add_u32 s2, s2, 12
	s_addc_u32 s3, s3, 0
	s_branch .LBB10_9
.LBB10_8:                               ;   in Loop: Header=BB10_9 Depth=1
	v_add_u32_e32 v0, -1, v0
	s_add_u32 s2, s2, 16
	s_addc_u32 s3, s3, 0
	s_mov_b64 s[6:7], 0
	v_cmp_eq_u32_e64 s[8:9], 0, v0
	s_andn2_b64 vcc, exec, s[8:9]
	s_cbranch_vccz .LBB10_13
.LBB10_9:                               ; =>This Inner Loop Header: Depth=1
	global_load_dwordx2 v[2:3], v1, s[2:3] offset:-8
	s_mov_b64 s[8:9], -1
                                        ; implicit-def: $sgpr6_sgpr7
	s_waitcnt vmcnt(0)
	v_cmp_ge_i32_e32 vcc, v2, v3
	s_cbranch_vccnz .LBB10_11
; %bb.10:                               ;   in Loop: Header=BB10_9 Depth=1
	global_load_dword v2, v1, s[2:3]
	s_mov_b64 s[6:7], -1
	s_waitcnt vmcnt(0)
	v_cmp_le_i32_e64 s[8:9], s5, v2
.LBB10_11:                              ;   in Loop: Header=BB10_9 Depth=1
	s_andn2_b64 vcc, exec, s[8:9]
	s_cbranch_vccz .LBB10_8
; %bb.12:
                                        ; implicit-def: $vgpr0
                                        ; implicit-def: $sgpr2_sgpr3
.LBB10_13:
	s_xor_b64 s[2:3], s[6:7], -1
	s_and_b64 vcc, exec, s[2:3]
	s_cbranch_vccz .LBB10_1
	s_branch .LBB10_15
.LBB10_14:
	s_cbranch_execz .LBB10_1
.LBB10_15:
	s_mov_b64 s[2:3], exec
	v_mov_b32_e32 v0, 0
	v_mov_b32_e32 v1, 1
	global_store_dword v0, v1, s[0:1] offset:8
	v_mbcnt_lo_u32_b32 v1, s2, 0
	v_mbcnt_hi_u32_b32 v1, s3, v1
	v_cmp_eq_u32_e32 vcc, 0, v1
	s_and_saveexec_b64 s[0:1], vcc
	s_cbranch_execz .LBB10_1
; %bb.16:
	s_bcnt1_i32_b64 s0, s[2:3]
	v_mov_b32_e32 v1, s0
	global_atomic_add v0, v1, s[14:15]
	s_endpgm
	.section	.rodata,"a",@progbits
	.p2align	6, 0x0
	.amdhsa_kernel _ZN9rocsolver6v33100L19bdsqr_chk_completedIffEEviiPiPT0_lS2_
		.amdhsa_group_segment_fixed_size 0
		.amdhsa_private_segment_fixed_size 0
		.amdhsa_kernarg_size 40
		.amdhsa_user_sgpr_count 6
		.amdhsa_user_sgpr_private_segment_buffer 1
		.amdhsa_user_sgpr_dispatch_ptr 0
		.amdhsa_user_sgpr_queue_ptr 0
		.amdhsa_user_sgpr_kernarg_segment_ptr 1
		.amdhsa_user_sgpr_dispatch_id 0
		.amdhsa_user_sgpr_flat_scratch_init 0
		.amdhsa_user_sgpr_kernarg_preload_length 0
		.amdhsa_user_sgpr_kernarg_preload_offset 0
		.amdhsa_user_sgpr_private_segment_size 0
		.amdhsa_uses_dynamic_stack 0
		.amdhsa_system_sgpr_private_segment_wavefront_offset 0
		.amdhsa_system_sgpr_workgroup_id_x 1
		.amdhsa_system_sgpr_workgroup_id_y 1
		.amdhsa_system_sgpr_workgroup_id_z 0
		.amdhsa_system_sgpr_workgroup_info 0
		.amdhsa_system_vgpr_workitem_id 0
		.amdhsa_next_free_vgpr 4
		.amdhsa_next_free_sgpr 16
		.amdhsa_accum_offset 4
		.amdhsa_reserve_vcc 1
		.amdhsa_reserve_flat_scratch 0
		.amdhsa_float_round_mode_32 0
		.amdhsa_float_round_mode_16_64 0
		.amdhsa_float_denorm_mode_32 3
		.amdhsa_float_denorm_mode_16_64 3
		.amdhsa_dx10_clamp 1
		.amdhsa_ieee_mode 1
		.amdhsa_fp16_overflow 0
		.amdhsa_tg_split 0
		.amdhsa_exception_fp_ieee_invalid_op 0
		.amdhsa_exception_fp_denorm_src 0
		.amdhsa_exception_fp_ieee_div_zero 0
		.amdhsa_exception_fp_ieee_overflow 0
		.amdhsa_exception_fp_ieee_underflow 0
		.amdhsa_exception_fp_ieee_inexact 0
		.amdhsa_exception_int_div_zero 0
	.end_amdhsa_kernel
	.section	.text._ZN9rocsolver6v33100L19bdsqr_chk_completedIffEEviiPiPT0_lS2_,"axG",@progbits,_ZN9rocsolver6v33100L19bdsqr_chk_completedIffEEviiPiPT0_lS2_,comdat
.Lfunc_end10:
	.size	_ZN9rocsolver6v33100L19bdsqr_chk_completedIffEEviiPiPT0_lS2_, .Lfunc_end10-_ZN9rocsolver6v33100L19bdsqr_chk_completedIffEEviiPiPT0_lS2_
                                        ; -- End function
	.section	.AMDGPU.csdata,"",@progbits
; Kernel info:
; codeLenInByte = 424
; NumSgprs: 20
; NumVgprs: 4
; NumAgprs: 0
; TotalNumVgprs: 4
; ScratchSize: 0
; MemoryBound: 0
; FloatMode: 240
; IeeeMode: 1
; LDSByteSize: 0 bytes/workgroup (compile time only)
; SGPRBlocks: 2
; VGPRBlocks: 0
; NumSGPRsForWavesPerEU: 20
; NumVGPRsForWavesPerEU: 4
; AccumOffset: 4
; Occupancy: 8
; WaveLimiterHint : 0
; COMPUTE_PGM_RSRC2:SCRATCH_EN: 0
; COMPUTE_PGM_RSRC2:USER_SGPR: 6
; COMPUTE_PGM_RSRC2:TRAP_HANDLER: 0
; COMPUTE_PGM_RSRC2:TGID_X_EN: 1
; COMPUTE_PGM_RSRC2:TGID_Y_EN: 1
; COMPUTE_PGM_RSRC2:TGID_Z_EN: 0
; COMPUTE_PGM_RSRC2:TIDIG_COMP_CNT: 0
; COMPUTE_PGM_RSRC3_GFX90A:ACCUM_OFFSET: 0
; COMPUTE_PGM_RSRC3_GFX90A:TG_SPLIT: 0
	.text
	.p2align	2                               ; -- Begin function __ockl_fprintf_append_string_n
	.type	__ockl_fprintf_append_string_n,@function
__ockl_fprintf_append_string_n:         ; @__ockl_fprintf_append_string_n
; %bb.0:
	s_waitcnt vmcnt(0) expcnt(0) lgkmcnt(0)
	v_mov_b32_e32 v9, v3
	v_mov_b32_e32 v8, v2
	v_or_b32_e32 v2, 2, v0
	v_cmp_eq_u32_e32 vcc, 0, v6
	s_mov_b32 s22, 0
	v_cndmask_b32_e32 v0, v2, v0, vcc
	s_mov_b64 s[6:7], 0
	v_cmp_ne_u64_e32 vcc, 0, v[8:9]
	v_mbcnt_lo_u32_b32 v2, -1, 0
	s_and_saveexec_b64 s[4:5], vcc
	s_xor_b64 s[10:11], exec, s[4:5]
	s_cbranch_execz .LBB11_86
; %bb.1:
	s_load_dwordx2 s[12:13], s[8:9], 0x50
	v_and_b32_e32 v6, 2, v0
	v_mov_b32_e32 v31, 0
	v_and_b32_e32 v0, -3, v0
	v_mbcnt_hi_u32_b32 v32, -1, v2
	s_movk_i32 s23, 0xff1f
	v_mov_b32_e32 v12, 2
	v_mov_b32_e32 v13, 1
	s_branch .LBB11_3
.LBB11_2:                               ;   in Loop: Header=BB11_3 Depth=1
	s_or_b64 exec, exec, s[16:17]
	v_sub_co_u32_e32 v4, vcc, v4, v34
	v_subb_co_u32_e32 v5, vcc, v5, v35, vcc
	v_cmp_eq_u64_e32 vcc, 0, v[4:5]
	s_or_b64 s[6:7], vcc, s[6:7]
	v_add_co_u32_e32 v8, vcc, v8, v34
	v_addc_co_u32_e32 v9, vcc, v9, v35, vcc
	s_andn2_b64 exec, exec, s[6:7]
	s_cbranch_execz .LBB11_85
.LBB11_3:                               ; =>This Loop Header: Depth=1
                                        ;     Child Loop BB11_6 Depth 2
                                        ;     Child Loop BB11_14 Depth 2
	;; [unrolled: 1-line block ×11, first 2 shown]
	v_cmp_gt_u64_e32 vcc, 56, v[4:5]
	v_cndmask_b32_e32 v35, 0, v5, vcc
	v_cndmask_b32_e32 v34, 56, v4, vcc
	v_cmp_gt_u64_e32 vcc, 8, v[4:5]
                                        ; implicit-def: $vgpr2_vgpr3
                                        ; implicit-def: $sgpr14
	s_and_saveexec_b64 s[4:5], vcc
	s_xor_b64 s[4:5], exec, s[4:5]
	s_cbranch_execz .LBB11_9
; %bb.4:                                ;   in Loop: Header=BB11_3 Depth=1
	s_mov_b64 s[16:17], 0
	v_cmp_ne_u64_e32 vcc, 0, v[4:5]
	s_waitcnt vmcnt(0)
	v_pk_mov_b32 v[2:3], 0, 0
	s_and_saveexec_b64 s[14:15], vcc
	s_cbranch_execz .LBB11_8
; %bb.5:                                ;   in Loop: Header=BB11_3 Depth=1
	v_lshlrev_b64 v[10:11], 3, v[34:35]
	v_pk_mov_b32 v[2:3], 0, 0
	v_pk_mov_b32 v[14:15], v[8:9], v[8:9] op_sel:[0,1]
	s_mov_b64 s[18:19], 0
.LBB11_6:                               ;   Parent Loop BB11_3 Depth=1
                                        ; =>  This Inner Loop Header: Depth=2
	flat_load_ubyte v7, v[14:15]
	v_mov_b32_e32 v17, s22
	v_add_co_u32_e32 v14, vcc, 1, v14
	v_addc_co_u32_e32 v15, vcc, 0, v15, vcc
	s_waitcnt vmcnt(0) lgkmcnt(0)
	v_and_b32_e32 v16, 0xffff, v7
	v_lshlrev_b64 v[16:17], s18, v[16:17]
	s_add_u32 s18, s18, 8
	s_addc_u32 s19, s19, 0
	v_cmp_eq_u32_e32 vcc, s18, v10
	v_or_b32_e32 v3, v17, v3
	s_or_b64 s[16:17], vcc, s[16:17]
	v_or_b32_e32 v2, v16, v2
	s_andn2_b64 exec, exec, s[16:17]
	s_cbranch_execnz .LBB11_6
; %bb.7:                                ;   in Loop: Header=BB11_3 Depth=1
	s_or_b64 exec, exec, s[16:17]
.LBB11_8:                               ;   in Loop: Header=BB11_3 Depth=1
	s_or_b64 exec, exec, s[14:15]
	s_mov_b32 s14, 0
.LBB11_9:                               ;   in Loop: Header=BB11_3 Depth=1
	s_or_saveexec_b64 s[4:5], s[4:5]
	v_mov_b32_e32 v7, s14
	v_pk_mov_b32 v[10:11], v[8:9], v[8:9] op_sel:[0,1]
	s_xor_b64 exec, exec, s[4:5]
	s_cbranch_execz .LBB11_11
; %bb.10:                               ;   in Loop: Header=BB11_3 Depth=1
	s_waitcnt vmcnt(0)
	flat_load_dwordx2 v[2:3], v[8:9]
	v_add_u32_e32 v7, -8, v34
	s_waitcnt vmcnt(0) lgkmcnt(0)
	v_and_b32_e32 v10, 0xff, v3
	v_and_b32_e32 v11, 0xff00, v3
	;; [unrolled: 1-line block ×4, first 2 shown]
	v_or_b32_e32 v10, v10, v11
	v_or3_b32 v3, v10, v14, v3
	v_add_co_u32_e32 v10, vcc, 8, v8
	v_or3_b32 v2, v2, 0, 0
	v_addc_co_u32_e32 v11, vcc, 0, v9, vcc
.LBB11_11:                              ;   in Loop: Header=BB11_3 Depth=1
	s_or_b64 exec, exec, s[4:5]
	v_cmp_gt_u32_e32 vcc, 8, v7
                                        ; implicit-def: $vgpr14_vgpr15
                                        ; implicit-def: $sgpr14
	s_and_saveexec_b64 s[4:5], vcc
	s_xor_b64 s[4:5], exec, s[4:5]
	s_cbranch_execz .LBB11_17
; %bb.12:                               ;   in Loop: Header=BB11_3 Depth=1
	v_cmp_ne_u32_e32 vcc, 0, v7
	v_pk_mov_b32 v[14:15], 0, 0
	s_and_saveexec_b64 s[14:15], vcc
	s_cbranch_execz .LBB11_16
; %bb.13:                               ;   in Loop: Header=BB11_3 Depth=1
	s_mov_b64 s[16:17], 0
	v_pk_mov_b32 v[14:15], 0, 0
	s_mov_b64 s[18:19], 0
	s_mov_b64 s[20:21], 0
.LBB11_14:                              ;   Parent Loop BB11_3 Depth=1
                                        ; =>  This Inner Loop Header: Depth=2
	v_mov_b32_e32 v17, s21
	v_add_co_u32_e32 v16, vcc, s20, v10
	v_addc_co_u32_e32 v17, vcc, v11, v17, vcc
	flat_load_ubyte v16, v[16:17]
	s_add_u32 s20, s20, 1
	v_mov_b32_e32 v17, s22
	s_addc_u32 s21, s21, 0
	v_cmp_eq_u32_e32 vcc, s20, v7
	s_waitcnt vmcnt(0) lgkmcnt(0)
	v_and_b32_e32 v16, 0xffff, v16
	v_lshlrev_b64 v[16:17], s18, v[16:17]
	s_add_u32 s18, s18, 8
	s_addc_u32 s19, s19, 0
	v_or_b32_e32 v15, v17, v15
	s_or_b64 s[16:17], vcc, s[16:17]
	v_or_b32_e32 v14, v16, v14
	s_andn2_b64 exec, exec, s[16:17]
	s_cbranch_execnz .LBB11_14
; %bb.15:                               ;   in Loop: Header=BB11_3 Depth=1
	s_or_b64 exec, exec, s[16:17]
.LBB11_16:                              ;   in Loop: Header=BB11_3 Depth=1
	s_or_b64 exec, exec, s[14:15]
	s_mov_b32 s14, 0
                                        ; implicit-def: $vgpr7
.LBB11_17:                              ;   in Loop: Header=BB11_3 Depth=1
	s_or_saveexec_b64 s[4:5], s[4:5]
	v_mov_b32_e32 v18, s14
	s_xor_b64 exec, exec, s[4:5]
	s_cbranch_execz .LBB11_19
; %bb.18:                               ;   in Loop: Header=BB11_3 Depth=1
	flat_load_dwordx2 v[14:15], v[10:11]
	v_add_u32_e32 v18, -8, v7
	v_add_co_u32_e32 v10, vcc, 8, v10
	v_addc_co_u32_e32 v11, vcc, 0, v11, vcc
	s_waitcnt vmcnt(0) lgkmcnt(0)
	v_and_b32_e32 v7, 0xff, v15
	v_and_b32_e32 v16, 0xff00, v15
	;; [unrolled: 1-line block ×4, first 2 shown]
	v_or_b32_e32 v7, v7, v16
	v_or3_b32 v14, v14, 0, 0
	v_or3_b32 v15, v7, v17, v15
.LBB11_19:                              ;   in Loop: Header=BB11_3 Depth=1
	s_or_b64 exec, exec, s[4:5]
	v_cmp_gt_u32_e32 vcc, 8, v18
                                        ; implicit-def: $sgpr14
	s_and_saveexec_b64 s[4:5], vcc
	s_xor_b64 s[4:5], exec, s[4:5]
	s_cbranch_execz .LBB11_25
; %bb.20:                               ;   in Loop: Header=BB11_3 Depth=1
	v_cmp_ne_u32_e32 vcc, 0, v18
	v_pk_mov_b32 v[16:17], 0, 0
	s_and_saveexec_b64 s[14:15], vcc
	s_cbranch_execz .LBB11_24
; %bb.21:                               ;   in Loop: Header=BB11_3 Depth=1
	s_mov_b64 s[16:17], 0
	v_pk_mov_b32 v[16:17], 0, 0
	s_mov_b64 s[18:19], 0
	s_mov_b64 s[20:21], 0
.LBB11_22:                              ;   Parent Loop BB11_3 Depth=1
                                        ; =>  This Inner Loop Header: Depth=2
	v_mov_b32_e32 v7, s21
	v_add_co_u32_e32 v20, vcc, s20, v10
	v_addc_co_u32_e32 v21, vcc, v11, v7, vcc
	flat_load_ubyte v7, v[20:21]
	s_add_u32 s20, s20, 1
	v_mov_b32_e32 v21, s22
	s_addc_u32 s21, s21, 0
	v_cmp_eq_u32_e32 vcc, s20, v18
	s_waitcnt vmcnt(0) lgkmcnt(0)
	v_and_b32_e32 v20, 0xffff, v7
	v_lshlrev_b64 v[20:21], s18, v[20:21]
	s_add_u32 s18, s18, 8
	s_addc_u32 s19, s19, 0
	v_or_b32_e32 v17, v21, v17
	s_or_b64 s[16:17], vcc, s[16:17]
	v_or_b32_e32 v16, v20, v16
	s_andn2_b64 exec, exec, s[16:17]
	s_cbranch_execnz .LBB11_22
; %bb.23:                               ;   in Loop: Header=BB11_3 Depth=1
	s_or_b64 exec, exec, s[16:17]
.LBB11_24:                              ;   in Loop: Header=BB11_3 Depth=1
	s_or_b64 exec, exec, s[14:15]
	s_mov_b32 s14, 0
                                        ; implicit-def: $vgpr18
.LBB11_25:                              ;   in Loop: Header=BB11_3 Depth=1
	s_or_saveexec_b64 s[4:5], s[4:5]
	v_mov_b32_e32 v7, s14
	s_xor_b64 exec, exec, s[4:5]
	s_cbranch_execz .LBB11_27
; %bb.26:                               ;   in Loop: Header=BB11_3 Depth=1
	flat_load_dwordx2 v[16:17], v[10:11]
	v_add_u32_e32 v7, -8, v18
	v_add_co_u32_e32 v10, vcc, 8, v10
	v_addc_co_u32_e32 v11, vcc, 0, v11, vcc
	s_waitcnt vmcnt(0) lgkmcnt(0)
	v_and_b32_e32 v18, 0xff, v17
	v_and_b32_e32 v19, 0xff00, v17
	;; [unrolled: 1-line block ×4, first 2 shown]
	v_or_b32_e32 v18, v18, v19
	v_or3_b32 v16, v16, 0, 0
	v_or3_b32 v17, v18, v20, v17
.LBB11_27:                              ;   in Loop: Header=BB11_3 Depth=1
	s_or_b64 exec, exec, s[4:5]
	v_cmp_gt_u32_e32 vcc, 8, v7
                                        ; implicit-def: $vgpr18_vgpr19
                                        ; implicit-def: $sgpr14
	s_and_saveexec_b64 s[4:5], vcc
	s_xor_b64 s[4:5], exec, s[4:5]
	s_cbranch_execz .LBB11_33
; %bb.28:                               ;   in Loop: Header=BB11_3 Depth=1
	v_cmp_ne_u32_e32 vcc, 0, v7
	v_pk_mov_b32 v[18:19], 0, 0
	s_and_saveexec_b64 s[14:15], vcc
	s_cbranch_execz .LBB11_32
; %bb.29:                               ;   in Loop: Header=BB11_3 Depth=1
	s_mov_b64 s[16:17], 0
	v_pk_mov_b32 v[18:19], 0, 0
	s_mov_b64 s[18:19], 0
	s_mov_b64 s[20:21], 0
.LBB11_30:                              ;   Parent Loop BB11_3 Depth=1
                                        ; =>  This Inner Loop Header: Depth=2
	v_mov_b32_e32 v21, s21
	v_add_co_u32_e32 v20, vcc, s20, v10
	v_addc_co_u32_e32 v21, vcc, v11, v21, vcc
	flat_load_ubyte v20, v[20:21]
	s_add_u32 s20, s20, 1
	v_mov_b32_e32 v21, s22
	s_addc_u32 s21, s21, 0
	v_cmp_eq_u32_e32 vcc, s20, v7
	s_waitcnt vmcnt(0) lgkmcnt(0)
	v_and_b32_e32 v20, 0xffff, v20
	v_lshlrev_b64 v[20:21], s18, v[20:21]
	s_add_u32 s18, s18, 8
	s_addc_u32 s19, s19, 0
	v_or_b32_e32 v19, v21, v19
	s_or_b64 s[16:17], vcc, s[16:17]
	v_or_b32_e32 v18, v20, v18
	s_andn2_b64 exec, exec, s[16:17]
	s_cbranch_execnz .LBB11_30
; %bb.31:                               ;   in Loop: Header=BB11_3 Depth=1
	s_or_b64 exec, exec, s[16:17]
.LBB11_32:                              ;   in Loop: Header=BB11_3 Depth=1
	s_or_b64 exec, exec, s[14:15]
	s_mov_b32 s14, 0
                                        ; implicit-def: $vgpr7
.LBB11_33:                              ;   in Loop: Header=BB11_3 Depth=1
	s_or_saveexec_b64 s[4:5], s[4:5]
	v_mov_b32_e32 v22, s14
	s_xor_b64 exec, exec, s[4:5]
	s_cbranch_execz .LBB11_35
; %bb.34:                               ;   in Loop: Header=BB11_3 Depth=1
	flat_load_dwordx2 v[18:19], v[10:11]
	v_add_u32_e32 v22, -8, v7
	v_add_co_u32_e32 v10, vcc, 8, v10
	v_addc_co_u32_e32 v11, vcc, 0, v11, vcc
	s_waitcnt vmcnt(0) lgkmcnt(0)
	v_and_b32_e32 v7, 0xff, v19
	v_and_b32_e32 v20, 0xff00, v19
	;; [unrolled: 1-line block ×4, first 2 shown]
	v_or_b32_e32 v7, v7, v20
	v_or3_b32 v18, v18, 0, 0
	v_or3_b32 v19, v7, v21, v19
.LBB11_35:                              ;   in Loop: Header=BB11_3 Depth=1
	s_or_b64 exec, exec, s[4:5]
	v_cmp_gt_u32_e32 vcc, 8, v22
                                        ; implicit-def: $sgpr14
	s_and_saveexec_b64 s[4:5], vcc
	s_xor_b64 s[4:5], exec, s[4:5]
	s_cbranch_execz .LBB11_41
; %bb.36:                               ;   in Loop: Header=BB11_3 Depth=1
	v_cmp_ne_u32_e32 vcc, 0, v22
	v_pk_mov_b32 v[20:21], 0, 0
	s_and_saveexec_b64 s[14:15], vcc
	s_cbranch_execz .LBB11_40
; %bb.37:                               ;   in Loop: Header=BB11_3 Depth=1
	s_mov_b64 s[16:17], 0
	v_pk_mov_b32 v[20:21], 0, 0
	s_mov_b64 s[18:19], 0
	s_mov_b64 s[20:21], 0
.LBB11_38:                              ;   Parent Loop BB11_3 Depth=1
                                        ; =>  This Inner Loop Header: Depth=2
	v_mov_b32_e32 v7, s21
	v_add_co_u32_e32 v24, vcc, s20, v10
	v_addc_co_u32_e32 v25, vcc, v11, v7, vcc
	flat_load_ubyte v7, v[24:25]
	s_add_u32 s20, s20, 1
	v_mov_b32_e32 v25, s22
	s_addc_u32 s21, s21, 0
	v_cmp_eq_u32_e32 vcc, s20, v22
	s_waitcnt vmcnt(0) lgkmcnt(0)
	v_and_b32_e32 v24, 0xffff, v7
	v_lshlrev_b64 v[24:25], s18, v[24:25]
	s_add_u32 s18, s18, 8
	s_addc_u32 s19, s19, 0
	v_or_b32_e32 v21, v25, v21
	s_or_b64 s[16:17], vcc, s[16:17]
	v_or_b32_e32 v20, v24, v20
	s_andn2_b64 exec, exec, s[16:17]
	s_cbranch_execnz .LBB11_38
; %bb.39:                               ;   in Loop: Header=BB11_3 Depth=1
	s_or_b64 exec, exec, s[16:17]
.LBB11_40:                              ;   in Loop: Header=BB11_3 Depth=1
	s_or_b64 exec, exec, s[14:15]
	s_mov_b32 s14, 0
                                        ; implicit-def: $vgpr22
.LBB11_41:                              ;   in Loop: Header=BB11_3 Depth=1
	s_or_saveexec_b64 s[4:5], s[4:5]
	v_mov_b32_e32 v7, s14
	s_xor_b64 exec, exec, s[4:5]
	s_cbranch_execz .LBB11_43
; %bb.42:                               ;   in Loop: Header=BB11_3 Depth=1
	flat_load_dwordx2 v[20:21], v[10:11]
	v_add_u32_e32 v7, -8, v22
	v_add_co_u32_e32 v10, vcc, 8, v10
	v_addc_co_u32_e32 v11, vcc, 0, v11, vcc
	s_waitcnt vmcnt(0) lgkmcnt(0)
	v_and_b32_e32 v22, 0xff, v21
	v_and_b32_e32 v23, 0xff00, v21
	;; [unrolled: 1-line block ×4, first 2 shown]
	v_or_b32_e32 v22, v22, v23
	v_or3_b32 v20, v20, 0, 0
	v_or3_b32 v21, v22, v24, v21
.LBB11_43:                              ;   in Loop: Header=BB11_3 Depth=1
	s_or_b64 exec, exec, s[4:5]
	v_cmp_gt_u32_e32 vcc, 8, v7
                                        ; implicit-def: $vgpr22_vgpr23
                                        ; implicit-def: $sgpr14
	s_and_saveexec_b64 s[4:5], vcc
	s_xor_b64 s[4:5], exec, s[4:5]
	s_cbranch_execz .LBB11_49
; %bb.44:                               ;   in Loop: Header=BB11_3 Depth=1
	v_cmp_ne_u32_e32 vcc, 0, v7
	v_pk_mov_b32 v[22:23], 0, 0
	s_and_saveexec_b64 s[14:15], vcc
	s_cbranch_execz .LBB11_48
; %bb.45:                               ;   in Loop: Header=BB11_3 Depth=1
	s_mov_b64 s[16:17], 0
	v_pk_mov_b32 v[22:23], 0, 0
	s_mov_b64 s[18:19], 0
	s_mov_b64 s[20:21], 0
.LBB11_46:                              ;   Parent Loop BB11_3 Depth=1
                                        ; =>  This Inner Loop Header: Depth=2
	v_mov_b32_e32 v25, s21
	v_add_co_u32_e32 v24, vcc, s20, v10
	v_addc_co_u32_e32 v25, vcc, v11, v25, vcc
	flat_load_ubyte v24, v[24:25]
	s_add_u32 s20, s20, 1
	v_mov_b32_e32 v25, s22
	s_addc_u32 s21, s21, 0
	v_cmp_eq_u32_e32 vcc, s20, v7
	s_waitcnt vmcnt(0) lgkmcnt(0)
	v_and_b32_e32 v24, 0xffff, v24
	v_lshlrev_b64 v[24:25], s18, v[24:25]
	s_add_u32 s18, s18, 8
	s_addc_u32 s19, s19, 0
	v_or_b32_e32 v23, v25, v23
	s_or_b64 s[16:17], vcc, s[16:17]
	v_or_b32_e32 v22, v24, v22
	s_andn2_b64 exec, exec, s[16:17]
	s_cbranch_execnz .LBB11_46
; %bb.47:                               ;   in Loop: Header=BB11_3 Depth=1
	s_or_b64 exec, exec, s[16:17]
.LBB11_48:                              ;   in Loop: Header=BB11_3 Depth=1
	s_or_b64 exec, exec, s[14:15]
	s_mov_b32 s14, 0
                                        ; implicit-def: $vgpr7
.LBB11_49:                              ;   in Loop: Header=BB11_3 Depth=1
	s_or_saveexec_b64 s[4:5], s[4:5]
	v_mov_b32_e32 v26, s14
	s_xor_b64 exec, exec, s[4:5]
	s_cbranch_execz .LBB11_51
; %bb.50:                               ;   in Loop: Header=BB11_3 Depth=1
	flat_load_dwordx2 v[22:23], v[10:11]
	v_add_u32_e32 v26, -8, v7
	v_add_co_u32_e32 v10, vcc, 8, v10
	v_addc_co_u32_e32 v11, vcc, 0, v11, vcc
	s_waitcnt vmcnt(0) lgkmcnt(0)
	v_and_b32_e32 v7, 0xff, v23
	v_and_b32_e32 v24, 0xff00, v23
	v_and_b32_e32 v25, 0xff0000, v23
	v_and_b32_e32 v23, 0xff000000, v23
	v_or_b32_e32 v7, v7, v24
	v_or3_b32 v22, v22, 0, 0
	v_or3_b32 v23, v7, v25, v23
.LBB11_51:                              ;   in Loop: Header=BB11_3 Depth=1
	s_or_b64 exec, exec, s[4:5]
	v_cmp_gt_u32_e32 vcc, 8, v26
	s_and_saveexec_b64 s[4:5], vcc
	s_xor_b64 s[4:5], exec, s[4:5]
	s_cbranch_execz .LBB11_57
; %bb.52:                               ;   in Loop: Header=BB11_3 Depth=1
	v_cmp_ne_u32_e32 vcc, 0, v26
	v_pk_mov_b32 v[24:25], 0, 0
	s_and_saveexec_b64 s[14:15], vcc
	s_cbranch_execz .LBB11_56
; %bb.53:                               ;   in Loop: Header=BB11_3 Depth=1
	s_mov_b64 s[16:17], 0
	v_pk_mov_b32 v[24:25], 0, 0
	s_mov_b64 s[18:19], 0
.LBB11_54:                              ;   Parent Loop BB11_3 Depth=1
                                        ; =>  This Inner Loop Header: Depth=2
	flat_load_ubyte v7, v[10:11]
	v_mov_b32_e32 v29, s22
	v_add_co_u32_e32 v10, vcc, 1, v10
	v_add_u32_e32 v26, -1, v26
	v_addc_co_u32_e32 v11, vcc, 0, v11, vcc
	v_cmp_eq_u32_e32 vcc, 0, v26
	s_waitcnt vmcnt(0) lgkmcnt(0)
	v_and_b32_e32 v28, 0xffff, v7
	v_lshlrev_b64 v[28:29], s18, v[28:29]
	s_add_u32 s18, s18, 8
	s_addc_u32 s19, s19, 0
	v_or_b32_e32 v25, v29, v25
	s_or_b64 s[16:17], vcc, s[16:17]
	v_or_b32_e32 v24, v28, v24
	s_andn2_b64 exec, exec, s[16:17]
	s_cbranch_execnz .LBB11_54
; %bb.55:                               ;   in Loop: Header=BB11_3 Depth=1
	s_or_b64 exec, exec, s[16:17]
.LBB11_56:                              ;   in Loop: Header=BB11_3 Depth=1
	s_or_b64 exec, exec, s[14:15]
                                        ; implicit-def: $vgpr10_vgpr11
.LBB11_57:                              ;   in Loop: Header=BB11_3 Depth=1
	s_andn2_saveexec_b64 s[4:5], s[4:5]
	s_cbranch_execz .LBB11_59
; %bb.58:                               ;   in Loop: Header=BB11_3 Depth=1
	flat_load_dwordx2 v[10:11], v[10:11]
	s_waitcnt vmcnt(0) lgkmcnt(0)
	v_and_b32_e32 v7, 0xff, v11
	v_and_b32_e32 v24, 0xff00, v11
	;; [unrolled: 1-line block ×4, first 2 shown]
	v_or_b32_e32 v7, v7, v24
	v_or3_b32 v25, v7, v25, v11
	v_or3_b32 v24, v10, 0, 0
.LBB11_59:                              ;   in Loop: Header=BB11_3 Depth=1
	s_or_b64 exec, exec, s[4:5]
	v_readfirstlane_b32 s4, v32
	v_cmp_eq_u32_e64 s[4:5], s4, v32
	v_pk_mov_b32 v[10:11], 0, 0
	s_and_saveexec_b64 s[14:15], s[4:5]
	s_cbranch_execz .LBB11_65
; %bb.60:                               ;   in Loop: Header=BB11_3 Depth=1
	s_waitcnt lgkmcnt(0)
	global_load_dwordx2 v[28:29], v31, s[12:13] offset:24 glc
	s_waitcnt vmcnt(0)
	buffer_invl2
	buffer_wbinvl1_vol
	global_load_dwordx2 v[10:11], v31, s[12:13] offset:40
	global_load_dwordx2 v[26:27], v31, s[12:13]
	s_waitcnt vmcnt(1)
	v_and_b32_e32 v7, v10, v28
	v_and_b32_e32 v10, v11, v29
	v_mul_lo_u32 v10, v10, 24
	v_mul_hi_u32 v11, v7, 24
	v_mul_lo_u32 v7, v7, 24
	v_add_u32_e32 v11, v11, v10
	s_waitcnt vmcnt(0)
	v_add_co_u32_e32 v10, vcc, v26, v7
	v_addc_co_u32_e32 v11, vcc, v27, v11, vcc
	global_load_dwordx2 v[26:27], v[10:11], off glc
	s_waitcnt vmcnt(0)
	global_atomic_cmpswap_x2 v[10:11], v31, v[26:29], s[12:13] offset:24 glc
	s_waitcnt vmcnt(0)
	buffer_invl2
	buffer_wbinvl1_vol
	v_cmp_ne_u64_e32 vcc, v[10:11], v[28:29]
	s_and_saveexec_b64 s[16:17], vcc
	s_cbranch_execz .LBB11_64
; %bb.61:                               ;   in Loop: Header=BB11_3 Depth=1
	s_mov_b64 s[18:19], 0
.LBB11_62:                              ;   Parent Loop BB11_3 Depth=1
                                        ; =>  This Inner Loop Header: Depth=2
	s_sleep 1
	global_load_dwordx2 v[26:27], v31, s[12:13] offset:40
	global_load_dwordx2 v[36:37], v31, s[12:13]
	v_pk_mov_b32 v[28:29], v[10:11], v[10:11] op_sel:[0,1]
	s_waitcnt vmcnt(1)
	v_and_b32_e32 v10, v26, v28
	s_waitcnt vmcnt(0)
	v_mad_u64_u32 v[10:11], s[20:21], v10, 24, v[36:37]
	v_and_b32_e32 v7, v27, v29
	v_mov_b32_e32 v26, v11
	v_mad_u64_u32 v[26:27], s[20:21], v7, 24, v[26:27]
	v_mov_b32_e32 v11, v26
	global_load_dwordx2 v[26:27], v[10:11], off glc
	s_waitcnt vmcnt(0)
	global_atomic_cmpswap_x2 v[10:11], v31, v[26:29], s[12:13] offset:24 glc
	s_waitcnt vmcnt(0)
	buffer_invl2
	buffer_wbinvl1_vol
	v_cmp_eq_u64_e32 vcc, v[10:11], v[28:29]
	s_or_b64 s[18:19], vcc, s[18:19]
	s_andn2_b64 exec, exec, s[18:19]
	s_cbranch_execnz .LBB11_62
; %bb.63:                               ;   in Loop: Header=BB11_3 Depth=1
	s_or_b64 exec, exec, s[18:19]
.LBB11_64:                              ;   in Loop: Header=BB11_3 Depth=1
	s_or_b64 exec, exec, s[16:17]
.LBB11_65:                              ;   in Loop: Header=BB11_3 Depth=1
	s_or_b64 exec, exec, s[14:15]
	s_waitcnt lgkmcnt(0)
	global_load_dwordx2 v[36:37], v31, s[12:13] offset:40
	global_load_dwordx4 v[26:29], v31, s[12:13]
	v_readfirstlane_b32 s14, v10
	v_readfirstlane_b32 s15, v11
	s_mov_b64 s[16:17], exec
	s_waitcnt vmcnt(1)
	v_readfirstlane_b32 s18, v36
	v_readfirstlane_b32 s19, v37
	s_and_b64 s[18:19], s[14:15], s[18:19]
	s_mul_i32 s20, s19, 24
	s_mul_hi_u32 s21, s18, 24
	s_mul_i32 s24, s18, 24
	s_add_i32 s20, s21, s20
	v_mov_b32_e32 v7, s20
	s_waitcnt vmcnt(0)
	v_add_co_u32_e32 v36, vcc, s24, v26
	v_addc_co_u32_e32 v37, vcc, v27, v7, vcc
	s_and_saveexec_b64 s[20:21], s[4:5]
	s_cbranch_execz .LBB11_67
; %bb.66:                               ;   in Loop: Header=BB11_3 Depth=1
	v_pk_mov_b32 v[10:11], s[16:17], s[16:17] op_sel:[0,1]
	global_store_dwordx4 v[36:37], v[10:13], off offset:8
.LBB11_67:                              ;   in Loop: Header=BB11_3 Depth=1
	s_or_b64 exec, exec, s[20:21]
	s_lshl_b64 s[16:17], s[18:19], 12
	v_mov_b32_e32 v7, s17
	v_add_co_u32_e32 v10, vcc, s16, v28
	v_addc_co_u32_e32 v7, vcc, v29, v7, vcc
	v_or_b32_e32 v11, 0, v1
	v_cmp_lt_u64_e32 vcc, 56, v[4:5]
	v_or_b32_e32 v28, v0, v6
	v_cndmask_b32_e32 v1, v11, v1, vcc
	v_lshl_add_u32 v11, v34, 2, 28
	v_cndmask_b32_e32 v0, v28, v0, vcc
	v_and_b32_e32 v11, 0x1e0, v11
	v_and_or_b32 v0, v0, s23, v11
	v_lshlrev_b32_e32 v11, 6, v32
	v_readfirstlane_b32 s16, v10
	v_readfirstlane_b32 s17, v7
	s_nop 4
	global_store_dwordx4 v11, v[0:3], s[16:17]
	global_store_dwordx4 v11, v[14:17], s[16:17] offset:16
	global_store_dwordx4 v11, v[18:21], s[16:17] offset:32
	;; [unrolled: 1-line block ×3, first 2 shown]
	s_and_saveexec_b64 s[16:17], s[4:5]
	s_cbranch_execz .LBB11_75
; %bb.68:                               ;   in Loop: Header=BB11_3 Depth=1
	global_load_dwordx2 v[18:19], v31, s[12:13] offset:32 glc
	global_load_dwordx2 v[0:1], v31, s[12:13] offset:40
	v_mov_b32_e32 v16, s14
	v_mov_b32_e32 v17, s15
	s_waitcnt vmcnt(0)
	v_readfirstlane_b32 s18, v0
	v_readfirstlane_b32 s19, v1
	s_and_b64 s[18:19], s[18:19], s[14:15]
	s_mul_i32 s19, s19, 24
	s_mul_hi_u32 s20, s18, 24
	s_mul_i32 s18, s18, 24
	s_add_i32 s19, s20, s19
	v_mov_b32_e32 v0, s19
	v_add_co_u32_e32 v14, vcc, s18, v26
	v_addc_co_u32_e32 v15, vcc, v27, v0, vcc
	global_store_dwordx2 v[14:15], v[18:19], off
	buffer_wbl2
	s_waitcnt vmcnt(0)
	global_atomic_cmpswap_x2 v[2:3], v31, v[16:19], s[12:13] offset:32 glc
	s_waitcnt vmcnt(0)
	v_cmp_ne_u64_e32 vcc, v[2:3], v[18:19]
	s_and_saveexec_b64 s[18:19], vcc
	s_cbranch_execz .LBB11_71
; %bb.69:                               ;   in Loop: Header=BB11_3 Depth=1
	s_mov_b64 s[20:21], 0
.LBB11_70:                              ;   Parent Loop BB11_3 Depth=1
                                        ; =>  This Inner Loop Header: Depth=2
	s_sleep 1
	global_store_dwordx2 v[14:15], v[2:3], off
	v_mov_b32_e32 v0, s14
	v_mov_b32_e32 v1, s15
	buffer_wbl2
	s_waitcnt vmcnt(0)
	global_atomic_cmpswap_x2 v[0:1], v31, v[0:3], s[12:13] offset:32 glc
	s_waitcnt vmcnt(0)
	v_cmp_eq_u64_e32 vcc, v[0:1], v[2:3]
	s_or_b64 s[20:21], vcc, s[20:21]
	v_pk_mov_b32 v[2:3], v[0:1], v[0:1] op_sel:[0,1]
	s_andn2_b64 exec, exec, s[20:21]
	s_cbranch_execnz .LBB11_70
.LBB11_71:                              ;   in Loop: Header=BB11_3 Depth=1
	s_or_b64 exec, exec, s[18:19]
	global_load_dwordx2 v[0:1], v31, s[12:13] offset:16
	s_mov_b64 s[20:21], exec
	v_mbcnt_lo_u32_b32 v2, s20, 0
	v_mbcnt_hi_u32_b32 v2, s21, v2
	v_cmp_eq_u32_e32 vcc, 0, v2
	s_and_saveexec_b64 s[18:19], vcc
	s_cbranch_execz .LBB11_73
; %bb.72:                               ;   in Loop: Header=BB11_3 Depth=1
	s_bcnt1_i32_b64 s20, s[20:21]
	v_mov_b32_e32 v30, s20
	buffer_wbl2
	s_waitcnt vmcnt(0)
	global_atomic_add_x2 v[0:1], v[30:31], off offset:8
.LBB11_73:                              ;   in Loop: Header=BB11_3 Depth=1
	s_or_b64 exec, exec, s[18:19]
	s_waitcnt vmcnt(0)
	global_load_dwordx2 v[2:3], v[0:1], off offset:16
	s_waitcnt vmcnt(0)
	v_cmp_eq_u64_e32 vcc, 0, v[2:3]
	s_cbranch_vccnz .LBB11_75
; %bb.74:                               ;   in Loop: Header=BB11_3 Depth=1
	global_load_dword v30, v[0:1], off offset:24
	s_waitcnt vmcnt(0)
	v_and_b32_e32 v0, 0xffffff, v30
	v_readfirstlane_b32 m0, v0
	buffer_wbl2
	global_store_dwordx2 v[2:3], v[30:31], off
	s_sendmsg sendmsg(MSG_INTERRUPT)
.LBB11_75:                              ;   in Loop: Header=BB11_3 Depth=1
	s_or_b64 exec, exec, s[16:17]
	v_add_co_u32_e32 v0, vcc, v10, v11
	v_addc_co_u32_e32 v1, vcc, 0, v7, vcc
	s_branch .LBB11_79
.LBB11_76:                              ;   in Loop: Header=BB11_79 Depth=2
	s_or_b64 exec, exec, s[16:17]
	v_readfirstlane_b32 s16, v2
	s_cmp_eq_u32 s16, 0
	s_cbranch_scc1 .LBB11_78
; %bb.77:                               ;   in Loop: Header=BB11_79 Depth=2
	s_sleep 1
	s_cbranch_execnz .LBB11_79
	s_branch .LBB11_81
.LBB11_78:                              ;   in Loop: Header=BB11_3 Depth=1
	s_branch .LBB11_81
.LBB11_79:                              ;   Parent Loop BB11_3 Depth=1
                                        ; =>  This Inner Loop Header: Depth=2
	v_mov_b32_e32 v2, 1
	s_and_saveexec_b64 s[16:17], s[4:5]
	s_cbranch_execz .LBB11_76
; %bb.80:                               ;   in Loop: Header=BB11_79 Depth=2
	global_load_dword v2, v[36:37], off offset:20 glc
	s_waitcnt vmcnt(0)
	buffer_invl2
	buffer_wbinvl1_vol
	v_and_b32_e32 v2, 1, v2
	s_branch .LBB11_76
.LBB11_81:                              ;   in Loop: Header=BB11_3 Depth=1
	global_load_dwordx4 v[0:3], v[0:1], off
	s_and_saveexec_b64 s[16:17], s[4:5]
	s_cbranch_execz .LBB11_2
; %bb.82:                               ;   in Loop: Header=BB11_3 Depth=1
	global_load_dwordx2 v[2:3], v31, s[12:13] offset:40
	global_load_dwordx2 v[10:11], v31, s[12:13] offset:24 glc
	global_load_dwordx2 v[18:19], v31, s[12:13]
	v_mov_b32_e32 v7, s15
	s_waitcnt vmcnt(2)
	v_add_co_u32_e32 v17, vcc, 1, v2
	v_addc_co_u32_e32 v20, vcc, 0, v3, vcc
	v_add_co_u32_e32 v14, vcc, s14, v17
	v_addc_co_u32_e32 v15, vcc, v20, v7, vcc
	v_cmp_eq_u64_e32 vcc, 0, v[14:15]
	v_cndmask_b32_e32 v15, v15, v20, vcc
	v_cndmask_b32_e32 v14, v14, v17, vcc
	v_and_b32_e32 v3, v15, v3
	v_and_b32_e32 v2, v14, v2
	v_mul_lo_u32 v3, v3, 24
	v_mul_hi_u32 v7, v2, 24
	v_mul_lo_u32 v2, v2, 24
	v_add_u32_e32 v3, v7, v3
	s_waitcnt vmcnt(0)
	v_add_co_u32_e32 v2, vcc, v18, v2
	v_addc_co_u32_e32 v3, vcc, v19, v3, vcc
	v_mov_b32_e32 v16, v10
	global_store_dwordx2 v[2:3], v[10:11], off
	v_mov_b32_e32 v17, v11
	buffer_wbl2
	s_waitcnt vmcnt(0)
	global_atomic_cmpswap_x2 v[16:17], v31, v[14:17], s[12:13] offset:24 glc
	s_waitcnt vmcnt(0)
	v_cmp_ne_u64_e32 vcc, v[16:17], v[10:11]
	s_and_b64 exec, exec, vcc
	s_cbranch_execz .LBB11_2
; %bb.83:                               ;   in Loop: Header=BB11_3 Depth=1
	s_mov_b64 s[4:5], 0
.LBB11_84:                              ;   Parent Loop BB11_3 Depth=1
                                        ; =>  This Inner Loop Header: Depth=2
	s_sleep 1
	global_store_dwordx2 v[2:3], v[16:17], off
	buffer_wbl2
	s_waitcnt vmcnt(0)
	global_atomic_cmpswap_x2 v[10:11], v31, v[14:17], s[12:13] offset:24 glc
	s_waitcnt vmcnt(0)
	v_cmp_eq_u64_e32 vcc, v[10:11], v[16:17]
	s_or_b64 s[4:5], vcc, s[4:5]
	v_pk_mov_b32 v[16:17], v[10:11], v[10:11] op_sel:[0,1]
	s_andn2_b64 exec, exec, s[4:5]
	s_cbranch_execnz .LBB11_84
	s_branch .LBB11_2
.LBB11_85:
	s_or_b64 exec, exec, s[6:7]
                                        ; implicit-def: $vgpr0
                                        ; implicit-def: $vgpr1
                                        ; implicit-def: $vgpr2
.LBB11_86:
	s_andn2_saveexec_b64 s[6:7], s[10:11]
	s_cbranch_execz .LBB11_109
; %bb.87:
	s_load_dwordx2 s[8:9], s[8:9], 0x50
	s_waitcnt vmcnt(0)
	v_mbcnt_hi_u32_b32 v3, -1, v2
	v_readfirstlane_b32 s4, v3
	v_cmp_eq_u32_e64 s[4:5], s4, v3
	v_pk_mov_b32 v[8:9], 0, 0
	s_and_saveexec_b64 s[10:11], s[4:5]
	s_cbranch_execz .LBB11_93
; %bb.88:
	v_mov_b32_e32 v2, 0
	s_waitcnt lgkmcnt(0)
	global_load_dwordx2 v[6:7], v2, s[8:9] offset:24 glc
	s_waitcnt vmcnt(0)
	buffer_invl2
	buffer_wbinvl1_vol
	global_load_dwordx2 v[4:5], v2, s[8:9] offset:40
	global_load_dwordx2 v[8:9], v2, s[8:9]
	s_waitcnt vmcnt(1)
	v_and_b32_e32 v4, v4, v6
	v_and_b32_e32 v5, v5, v7
	v_mul_lo_u32 v5, v5, 24
	v_mul_hi_u32 v10, v4, 24
	v_mul_lo_u32 v4, v4, 24
	v_add_u32_e32 v5, v10, v5
	s_waitcnt vmcnt(0)
	v_add_co_u32_e32 v4, vcc, v8, v4
	v_addc_co_u32_e32 v5, vcc, v9, v5, vcc
	global_load_dwordx2 v[4:5], v[4:5], off glc
	s_waitcnt vmcnt(0)
	global_atomic_cmpswap_x2 v[8:9], v2, v[4:7], s[8:9] offset:24 glc
	s_waitcnt vmcnt(0)
	buffer_invl2
	buffer_wbinvl1_vol
	v_cmp_ne_u64_e32 vcc, v[8:9], v[6:7]
	s_and_saveexec_b64 s[12:13], vcc
	s_cbranch_execz .LBB11_92
; %bb.89:
	s_mov_b64 s[14:15], 0
.LBB11_90:                              ; =>This Inner Loop Header: Depth=1
	s_sleep 1
	global_load_dwordx2 v[4:5], v2, s[8:9] offset:40
	global_load_dwordx2 v[10:11], v2, s[8:9]
	v_pk_mov_b32 v[6:7], v[8:9], v[8:9] op_sel:[0,1]
	s_waitcnt vmcnt(1)
	v_and_b32_e32 v4, v4, v6
	v_and_b32_e32 v9, v5, v7
	s_waitcnt vmcnt(0)
	v_mad_u64_u32 v[4:5], s[16:17], v4, 24, v[10:11]
	v_mov_b32_e32 v8, v5
	v_mad_u64_u32 v[8:9], s[16:17], v9, 24, v[8:9]
	v_mov_b32_e32 v5, v8
	global_load_dwordx2 v[4:5], v[4:5], off glc
	s_waitcnt vmcnt(0)
	global_atomic_cmpswap_x2 v[8:9], v2, v[4:7], s[8:9] offset:24 glc
	s_waitcnt vmcnt(0)
	buffer_invl2
	buffer_wbinvl1_vol
	v_cmp_eq_u64_e32 vcc, v[8:9], v[6:7]
	s_or_b64 s[14:15], vcc, s[14:15]
	s_andn2_b64 exec, exec, s[14:15]
	s_cbranch_execnz .LBB11_90
; %bb.91:
	s_or_b64 exec, exec, s[14:15]
.LBB11_92:
	s_or_b64 exec, exec, s[12:13]
.LBB11_93:
	s_or_b64 exec, exec, s[10:11]
	v_mov_b32_e32 v2, 0
	s_waitcnt lgkmcnt(0)
	global_load_dwordx2 v[10:11], v2, s[8:9] offset:40
	global_load_dwordx4 v[4:7], v2, s[8:9]
	v_readfirstlane_b32 s10, v8
	v_readfirstlane_b32 s11, v9
	s_mov_b64 s[12:13], exec
	s_waitcnt vmcnt(1)
	v_readfirstlane_b32 s14, v10
	v_readfirstlane_b32 s15, v11
	s_and_b64 s[14:15], s[10:11], s[14:15]
	s_mul_i32 s16, s15, 24
	s_mul_hi_u32 s17, s14, 24
	s_mul_i32 s18, s14, 24
	s_add_i32 s16, s17, s16
	v_mov_b32_e32 v9, s16
	s_waitcnt vmcnt(0)
	v_add_co_u32_e32 v8, vcc, s18, v4
	v_addc_co_u32_e32 v9, vcc, v5, v9, vcc
	s_and_saveexec_b64 s[16:17], s[4:5]
	s_cbranch_execz .LBB11_95
; %bb.94:
	v_pk_mov_b32 v[10:11], s[12:13], s[12:13] op_sel:[0,1]
	v_mov_b32_e32 v12, 2
	v_mov_b32_e32 v13, 1
	global_store_dwordx4 v[8:9], v[10:13], off offset:8
.LBB11_95:
	s_or_b64 exec, exec, s[16:17]
	s_lshl_b64 s[12:13], s[14:15], 12
	v_mov_b32_e32 v10, s13
	v_add_co_u32_e32 v6, vcc, s12, v6
	s_movk_i32 s12, 0xff1f
	v_addc_co_u32_e32 v7, vcc, v7, v10, vcc
	v_and_or_b32 v0, v0, s12, 32
	s_mov_b32 s12, 0
	v_lshlrev_b32_e32 v10, 6, v3
	v_mov_b32_e32 v3, v2
	v_readfirstlane_b32 s16, v6
	v_readfirstlane_b32 s17, v7
	s_mov_b32 s13, s12
	s_mov_b32 s14, s12
	;; [unrolled: 1-line block ×3, first 2 shown]
	s_nop 1
	global_store_dwordx4 v10, v[0:3], s[16:17]
	s_nop 0
	v_pk_mov_b32 v[0:1], s[12:13], s[12:13] op_sel:[0,1]
	v_pk_mov_b32 v[2:3], s[14:15], s[14:15] op_sel:[0,1]
	global_store_dwordx4 v10, v[0:3], s[16:17] offset:16
	global_store_dwordx4 v10, v[0:3], s[16:17] offset:32
	;; [unrolled: 1-line block ×3, first 2 shown]
	s_and_saveexec_b64 s[12:13], s[4:5]
	s_cbranch_execz .LBB11_103
; %bb.96:
	v_mov_b32_e32 v6, 0
	global_load_dwordx2 v[12:13], v6, s[8:9] offset:32 glc
	global_load_dwordx2 v[0:1], v6, s[8:9] offset:40
	v_mov_b32_e32 v10, s10
	v_mov_b32_e32 v11, s11
	s_waitcnt vmcnt(0)
	v_and_b32_e32 v0, s10, v0
	v_and_b32_e32 v1, s11, v1
	v_mul_lo_u32 v1, v1, 24
	v_mul_hi_u32 v2, v0, 24
	v_mul_lo_u32 v0, v0, 24
	v_add_u32_e32 v1, v2, v1
	v_add_co_u32_e32 v4, vcc, v4, v0
	v_addc_co_u32_e32 v5, vcc, v5, v1, vcc
	global_store_dwordx2 v[4:5], v[12:13], off
	buffer_wbl2
	s_waitcnt vmcnt(0)
	global_atomic_cmpswap_x2 v[2:3], v6, v[10:13], s[8:9] offset:32 glc
	s_waitcnt vmcnt(0)
	v_cmp_ne_u64_e32 vcc, v[2:3], v[12:13]
	s_and_saveexec_b64 s[14:15], vcc
	s_cbranch_execz .LBB11_99
; %bb.97:
	s_mov_b64 s[16:17], 0
.LBB11_98:                              ; =>This Inner Loop Header: Depth=1
	s_sleep 1
	global_store_dwordx2 v[4:5], v[2:3], off
	v_mov_b32_e32 v0, s10
	v_mov_b32_e32 v1, s11
	buffer_wbl2
	s_waitcnt vmcnt(0)
	global_atomic_cmpswap_x2 v[0:1], v6, v[0:3], s[8:9] offset:32 glc
	s_waitcnt vmcnt(0)
	v_cmp_eq_u64_e32 vcc, v[0:1], v[2:3]
	s_or_b64 s[16:17], vcc, s[16:17]
	v_pk_mov_b32 v[2:3], v[0:1], v[0:1] op_sel:[0,1]
	s_andn2_b64 exec, exec, s[16:17]
	s_cbranch_execnz .LBB11_98
.LBB11_99:
	s_or_b64 exec, exec, s[14:15]
	v_mov_b32_e32 v3, 0
	global_load_dwordx2 v[0:1], v3, s[8:9] offset:16
	s_mov_b64 s[14:15], exec
	v_mbcnt_lo_u32_b32 v2, s14, 0
	v_mbcnt_hi_u32_b32 v2, s15, v2
	v_cmp_eq_u32_e32 vcc, 0, v2
	s_and_saveexec_b64 s[16:17], vcc
	s_cbranch_execz .LBB11_101
; %bb.100:
	s_bcnt1_i32_b64 s14, s[14:15]
	v_mov_b32_e32 v2, s14
	buffer_wbl2
	s_waitcnt vmcnt(0)
	global_atomic_add_x2 v[0:1], v[2:3], off offset:8
.LBB11_101:
	s_or_b64 exec, exec, s[16:17]
	s_waitcnt vmcnt(0)
	global_load_dwordx2 v[2:3], v[0:1], off offset:16
	s_waitcnt vmcnt(0)
	v_cmp_eq_u64_e32 vcc, 0, v[2:3]
	s_cbranch_vccnz .LBB11_103
; %bb.102:
	global_load_dword v0, v[0:1], off offset:24
	v_mov_b32_e32 v1, 0
	buffer_wbl2
	s_waitcnt vmcnt(0)
	global_store_dwordx2 v[2:3], v[0:1], off
	v_and_b32_e32 v0, 0xffffff, v0
	v_readfirstlane_b32 m0, v0
	s_sendmsg sendmsg(MSG_INTERRUPT)
.LBB11_103:
	s_or_b64 exec, exec, s[12:13]
	s_branch .LBB11_107
.LBB11_104:                             ;   in Loop: Header=BB11_107 Depth=1
	s_or_b64 exec, exec, s[12:13]
	v_readfirstlane_b32 s12, v0
	s_cmp_eq_u32 s12, 0
	s_cbranch_scc1 .LBB11_106
; %bb.105:                              ;   in Loop: Header=BB11_107 Depth=1
	s_sleep 1
	s_cbranch_execnz .LBB11_107
	s_branch .LBB11_110
.LBB11_106:
	s_branch .LBB11_110
.LBB11_107:                             ; =>This Inner Loop Header: Depth=1
	v_mov_b32_e32 v0, 1
	s_and_saveexec_b64 s[12:13], s[4:5]
	s_cbranch_execz .LBB11_104
; %bb.108:                              ;   in Loop: Header=BB11_107 Depth=1
	global_load_dword v0, v[8:9], off offset:20 glc
	s_waitcnt vmcnt(0)
	buffer_invl2
	buffer_wbinvl1_vol
	v_and_b32_e32 v0, 1, v0
	s_branch .LBB11_104
.LBB11_109:
	s_or_b64 exec, exec, s[6:7]
	s_waitcnt vmcnt(0) lgkmcnt(0)
	s_setpc_b64 s[30:31]
.LBB11_110:
	s_and_saveexec_b64 s[12:13], s[4:5]
	s_cbranch_execz .LBB11_113
; %bb.111:
	v_mov_b32_e32 v6, 0
	global_load_dwordx2 v[4:5], v6, s[8:9] offset:40
	global_load_dwordx2 v[8:9], v6, s[8:9] offset:24 glc
	global_load_dwordx2 v[10:11], v6, s[8:9]
	v_mov_b32_e32 v1, s11
	s_mov_b64 s[4:5], 0
	s_waitcnt vmcnt(2)
	v_add_co_u32_e32 v3, vcc, 1, v4
	v_addc_co_u32_e32 v7, vcc, 0, v5, vcc
	v_add_co_u32_e32 v0, vcc, s10, v3
	v_addc_co_u32_e32 v1, vcc, v7, v1, vcc
	v_cmp_eq_u64_e32 vcc, 0, v[0:1]
	v_cndmask_b32_e32 v1, v1, v7, vcc
	v_cndmask_b32_e32 v0, v0, v3, vcc
	v_and_b32_e32 v3, v1, v5
	v_and_b32_e32 v4, v0, v4
	v_mul_lo_u32 v3, v3, 24
	v_mul_hi_u32 v5, v4, 24
	v_mul_lo_u32 v4, v4, 24
	v_add_u32_e32 v3, v5, v3
	s_waitcnt vmcnt(0)
	v_add_co_u32_e32 v4, vcc, v10, v4
	v_addc_co_u32_e32 v5, vcc, v11, v3, vcc
	v_mov_b32_e32 v2, v8
	global_store_dwordx2 v[4:5], v[8:9], off
	v_mov_b32_e32 v3, v9
	buffer_wbl2
	s_waitcnt vmcnt(0)
	global_atomic_cmpswap_x2 v[2:3], v6, v[0:3], s[8:9] offset:24 glc
	s_waitcnt vmcnt(0)
	v_cmp_ne_u64_e32 vcc, v[2:3], v[8:9]
	s_and_b64 exec, exec, vcc
	s_cbranch_execz .LBB11_113
.LBB11_112:                             ; =>This Inner Loop Header: Depth=1
	s_sleep 1
	global_store_dwordx2 v[4:5], v[2:3], off
	buffer_wbl2
	s_waitcnt vmcnt(0)
	global_atomic_cmpswap_x2 v[8:9], v6, v[0:3], s[8:9] offset:24 glc
	s_waitcnt vmcnt(0)
	v_cmp_eq_u64_e32 vcc, v[8:9], v[2:3]
	s_or_b64 s[4:5], vcc, s[4:5]
	v_pk_mov_b32 v[2:3], v[8:9], v[8:9] op_sel:[0,1]
	s_andn2_b64 exec, exec, s[4:5]
	s_cbranch_execnz .LBB11_112
.LBB11_113:
	s_or_b64 exec, exec, s[12:13]
	s_or_b64 exec, exec, s[6:7]
	s_waitcnt vmcnt(0) lgkmcnt(0)
	s_setpc_b64 s[30:31]
.Lfunc_end11:
	.size	__ockl_fprintf_append_string_n, .Lfunc_end11-__ockl_fprintf_append_string_n
                                        ; -- End function
	.section	.AMDGPU.csdata,"",@progbits
; Function info:
; codeLenInByte = 4372
; NumSgprs: 36
; NumVgprs: 38
; NumAgprs: 0
; TotalNumVgprs: 38
; ScratchSize: 0
; MemoryBound: 0
	.text
	.p2align	2                               ; -- Begin function __assert_fail
	.type	__assert_fail,@function
__assert_fail:                          ; @__assert_fail
; %bb.0:
	s_waitcnt vmcnt(0) expcnt(0) lgkmcnt(0)
	s_mov_b32 s25, s33
	s_mov_b32 s33, s32
	s_or_saveexec_b64 s[4:5], -1
	buffer_store_dword v40, off, s[0:3], s33 offset:48 ; 4-byte Folded Spill
	s_mov_b64 exec, s[4:5]
	v_writelane_b32 v40, s30, 0
	s_addk_i32 s32, 0x1000
	v_writelane_b32 v40, s31, 1
	s_getpc_b64 s[4:5]
	s_add_u32 s4, s4, __const.__assert_fail.fmt@rel32@lo+4
	s_addc_u32 s5, s5, __const.__assert_fail.fmt@rel32@hi+12
	s_load_dwordx4 s[4:7], s[4:5], 0x0
	v_mov_b32_e32 v4, v0
	v_mov_b32_e32 v0, 0xa2e
	buffer_store_short v0, off, s[0:3], s33 offset:44
	v_mov_b32_e32 v0, 0x64656c69
	buffer_store_dword v0, off, s[0:3], s33 offset:40
	v_mov_b32_e32 v0, 0x61662027
	s_getpc_b64 s[10:11]
	s_add_u32 s10, s10, __const.__assert_fail.fmt@rel32@lo+20
	s_addc_u32 s11, s11, __const.__assert_fail.fmt@rel32@hi+28
	buffer_store_dword v0, off, s[0:3], s33 offset:36
	v_mov_b32_e32 v0, 0x73256020
	s_load_dwordx4 s[12:15], s[10:11], 0x0
	buffer_store_dword v0, off, s[0:3], s33 offset:32
	s_waitcnt lgkmcnt(0)
	v_mov_b32_e32 v0, s7
	buffer_store_dword v0, off, s[0:3], s33 offset:12
	v_mov_b32_e32 v0, s6
	buffer_store_dword v0, off, s[0:3], s33 offset:8
	;; [unrolled: 2-line block ×3, first 2 shown]
	v_mov_b32_e32 v0, s4
	buffer_store_dword v0, off, s[0:3], s33
	v_mov_b32_e32 v0, s15
	buffer_store_dword v0, off, s[0:3], s33 offset:28
	v_mov_b32_e32 v0, s14
	buffer_store_dword v0, off, s[0:3], s33 offset:24
	;; [unrolled: 2-line block ×3, first 2 shown]
	v_mov_b32_e32 v0, s12
	s_load_dwordx2 s[10:11], s[8:9], 0x50
	buffer_store_dword v0, off, s[0:3], s33 offset:16
	v_mbcnt_lo_u32_b32 v0, -1, 0
	v_mbcnt_hi_u32_b32 v37, -1, v0
	v_readfirstlane_b32 s4, v37
	v_mov_b32_e32 v5, v1
	v_mov_b32_e32 v8, 0
	v_cmp_eq_u32_e64 s[4:5], s4, v37
	v_pk_mov_b32 v[6:7], 0, 0
	buffer_store_byte v8, off, s[0:3], s33 offset:46
	s_and_saveexec_b64 s[6:7], s[4:5]
	s_cbranch_execz .LBB12_6
; %bb.1:
	s_waitcnt lgkmcnt(0)
	global_load_dwordx2 v[2:3], v8, s[10:11] offset:24 glc
	s_waitcnt vmcnt(0)
	buffer_invl2
	buffer_wbinvl1_vol
	global_load_dwordx2 v[0:1], v8, s[10:11] offset:40
	global_load_dwordx2 v[6:7], v8, s[10:11]
	s_waitcnt vmcnt(1)
	v_and_b32_e32 v0, v0, v2
	v_and_b32_e32 v1, v1, v3
	v_mul_lo_u32 v1, v1, 24
	v_mul_hi_u32 v9, v0, 24
	v_mul_lo_u32 v0, v0, 24
	v_add_u32_e32 v1, v9, v1
	s_waitcnt vmcnt(0)
	v_add_co_u32_e32 v0, vcc, v6, v0
	v_addc_co_u32_e32 v1, vcc, v7, v1, vcc
	global_load_dwordx2 v[0:1], v[0:1], off glc
	s_waitcnt vmcnt(0)
	global_atomic_cmpswap_x2 v[6:7], v8, v[0:3], s[10:11] offset:24 glc
	s_waitcnt vmcnt(0)
	buffer_invl2
	buffer_wbinvl1_vol
	v_cmp_ne_u64_e32 vcc, v[6:7], v[2:3]
	s_and_saveexec_b64 s[12:13], vcc
	s_cbranch_execz .LBB12_5
; %bb.2:
	s_mov_b64 s[14:15], 0
.LBB12_3:                               ; =>This Inner Loop Header: Depth=1
	s_sleep 1
	global_load_dwordx2 v[0:1], v8, s[10:11] offset:40
	global_load_dwordx2 v[10:11], v8, s[10:11]
	v_pk_mov_b32 v[2:3], v[6:7], v[6:7] op_sel:[0,1]
	s_waitcnt vmcnt(1)
	v_and_b32_e32 v0, v0, v2
	v_and_b32_e32 v7, v1, v3
	s_waitcnt vmcnt(0)
	v_mad_u64_u32 v[0:1], s[16:17], v0, 24, v[10:11]
	v_mov_b32_e32 v6, v1
	v_mad_u64_u32 v[6:7], s[16:17], v7, 24, v[6:7]
	v_mov_b32_e32 v1, v6
	global_load_dwordx2 v[0:1], v[0:1], off glc
	s_waitcnt vmcnt(0)
	global_atomic_cmpswap_x2 v[6:7], v8, v[0:3], s[10:11] offset:24 glc
	s_waitcnt vmcnt(0)
	buffer_invl2
	buffer_wbinvl1_vol
	v_cmp_eq_u64_e32 vcc, v[6:7], v[2:3]
	s_or_b64 s[14:15], vcc, s[14:15]
	s_andn2_b64 exec, exec, s[14:15]
	s_cbranch_execnz .LBB12_3
; %bb.4:
	s_or_b64 exec, exec, s[14:15]
.LBB12_5:
	s_or_b64 exec, exec, s[12:13]
.LBB12_6:
	s_or_b64 exec, exec, s[6:7]
	s_waitcnt lgkmcnt(0)
	global_load_dwordx2 v[10:11], v8, s[10:11] offset:40
	global_load_dwordx4 v[0:3], v8, s[10:11]
	v_readfirstlane_b32 s6, v6
	v_readfirstlane_b32 s7, v7
	s_mov_b64 s[12:13], exec
	s_waitcnt vmcnt(1)
	v_readfirstlane_b32 s14, v10
	v_readfirstlane_b32 s15, v11
	s_and_b64 s[14:15], s[6:7], s[14:15]
	s_mul_i32 s16, s15, 24
	s_mul_hi_u32 s17, s14, 24
	s_mul_i32 s18, s14, 24
	s_add_i32 s16, s17, s16
	v_mov_b32_e32 v6, s16
	s_waitcnt vmcnt(0)
	v_add_co_u32_e32 v10, vcc, s18, v0
	v_addc_co_u32_e32 v11, vcc, v1, v6, vcc
	s_and_saveexec_b64 s[16:17], s[4:5]
	s_cbranch_execz .LBB12_8
; %bb.7:
	v_pk_mov_b32 v[6:7], s[12:13], s[12:13] op_sel:[0,1]
	v_mov_b32_e32 v8, 2
	v_mov_b32_e32 v9, 1
	global_store_dwordx4 v[10:11], v[6:9], off offset:8
.LBB12_8:
	s_or_b64 exec, exec, s[16:17]
	s_lshl_b64 s[12:13], s[14:15], 12
	v_mov_b32_e32 v6, s13
	v_add_co_u32_e32 v2, vcc, s12, v2
	s_mov_b32 s12, 0
	v_addc_co_u32_e32 v3, vcc, v3, v6, vcc
	v_lshlrev_b32_e32 v36, 6, v37
	s_mov_b32 s14, s12
	s_mov_b32 s15, s12
	v_mov_b32_e32 v7, 0
	v_add_co_u32_e32 v12, vcc, v2, v36
	s_mov_b32 s13, s12
	v_pk_mov_b32 v[16:17], s[14:15], s[14:15] op_sel:[0,1]
	v_addc_co_u32_e32 v13, vcc, 0, v3, vcc
	v_mov_b32_e32 v6, 33
	v_mov_b32_e32 v8, 1
	;; [unrolled: 1-line block ×3, first 2 shown]
	v_readfirstlane_b32 s16, v2
	v_readfirstlane_b32 s17, v3
	v_pk_mov_b32 v[14:15], s[12:13], s[12:13] op_sel:[0,1]
	s_nop 3
	global_store_dwordx4 v36, v[6:9], s[16:17]
	global_store_dwordx4 v36, v[14:17], s[16:17] offset:16
	global_store_dwordx4 v36, v[14:17], s[16:17] offset:32
	;; [unrolled: 1-line block ×3, first 2 shown]
	s_and_saveexec_b64 s[12:13], s[4:5]
	s_cbranch_execz .LBB12_16
; %bb.9:
	global_load_dwordx2 v[16:17], v7, s[10:11] offset:32 glc
	global_load_dwordx2 v[2:3], v7, s[10:11] offset:40
	v_mov_b32_e32 v14, s6
	v_mov_b32_e32 v15, s7
	s_waitcnt vmcnt(0)
	v_and_b32_e32 v2, s6, v2
	v_and_b32_e32 v3, s7, v3
	v_mul_lo_u32 v3, v3, 24
	v_mul_hi_u32 v6, v2, 24
	v_mul_lo_u32 v2, v2, 24
	v_add_u32_e32 v3, v6, v3
	v_add_co_u32_e32 v8, vcc, v0, v2
	v_addc_co_u32_e32 v9, vcc, v1, v3, vcc
	global_store_dwordx2 v[8:9], v[16:17], off
	buffer_wbl2
	s_waitcnt vmcnt(0)
	global_atomic_cmpswap_x2 v[2:3], v7, v[14:17], s[10:11] offset:32 glc
	s_waitcnt vmcnt(0)
	v_cmp_ne_u64_e32 vcc, v[2:3], v[16:17]
	s_and_saveexec_b64 s[14:15], vcc
	s_cbranch_execz .LBB12_12
; %bb.10:
	s_mov_b64 s[16:17], 0
.LBB12_11:                              ; =>This Inner Loop Header: Depth=1
	s_sleep 1
	global_store_dwordx2 v[8:9], v[2:3], off
	v_mov_b32_e32 v0, s6
	v_mov_b32_e32 v1, s7
	buffer_wbl2
	s_waitcnt vmcnt(0)
	global_atomic_cmpswap_x2 v[0:1], v7, v[0:3], s[10:11] offset:32 glc
	s_waitcnt vmcnt(0)
	v_cmp_eq_u64_e32 vcc, v[0:1], v[2:3]
	s_or_b64 s[16:17], vcc, s[16:17]
	v_pk_mov_b32 v[2:3], v[0:1], v[0:1] op_sel:[0,1]
	s_andn2_b64 exec, exec, s[16:17]
	s_cbranch_execnz .LBB12_11
.LBB12_12:
	s_or_b64 exec, exec, s[14:15]
	v_mov_b32_e32 v3, 0
	global_load_dwordx2 v[0:1], v3, s[10:11] offset:16
	s_mov_b64 s[14:15], exec
	v_mbcnt_lo_u32_b32 v2, s14, 0
	v_mbcnt_hi_u32_b32 v2, s15, v2
	v_cmp_eq_u32_e32 vcc, 0, v2
	s_and_saveexec_b64 s[16:17], vcc
	s_cbranch_execz .LBB12_14
; %bb.13:
	s_bcnt1_i32_b64 s14, s[14:15]
	v_mov_b32_e32 v2, s14
	buffer_wbl2
	s_waitcnt vmcnt(0)
	global_atomic_add_x2 v[0:1], v[2:3], off offset:8
.LBB12_14:
	s_or_b64 exec, exec, s[16:17]
	s_waitcnt vmcnt(0)
	global_load_dwordx2 v[2:3], v[0:1], off offset:16
	s_waitcnt vmcnt(0)
	v_cmp_eq_u64_e32 vcc, 0, v[2:3]
	s_cbranch_vccnz .LBB12_16
; %bb.15:
	global_load_dword v0, v[0:1], off offset:24
	v_mov_b32_e32 v1, 0
	buffer_wbl2
	s_waitcnt vmcnt(0)
	global_store_dwordx2 v[2:3], v[0:1], off
	v_and_b32_e32 v0, 0xffffff, v0
	v_readfirstlane_b32 m0, v0
	s_sendmsg sendmsg(MSG_INTERRUPT)
.LBB12_16:
	s_or_b64 exec, exec, s[12:13]
	s_branch .LBB12_20
.LBB12_17:                              ;   in Loop: Header=BB12_20 Depth=1
	s_or_b64 exec, exec, s[12:13]
	v_readfirstlane_b32 s12, v0
	s_cmp_eq_u32 s12, 0
	s_cbranch_scc1 .LBB12_19
; %bb.18:                               ;   in Loop: Header=BB12_20 Depth=1
	s_sleep 1
	s_cbranch_execnz .LBB12_20
	s_branch .LBB12_22
.LBB12_19:
	s_branch .LBB12_22
.LBB12_20:                              ; =>This Inner Loop Header: Depth=1
	v_mov_b32_e32 v0, 1
	s_and_saveexec_b64 s[12:13], s[4:5]
	s_cbranch_execz .LBB12_17
; %bb.21:                               ;   in Loop: Header=BB12_20 Depth=1
	global_load_dword v0, v[10:11], off offset:20 glc
	s_waitcnt vmcnt(0)
	buffer_invl2
	buffer_wbinvl1_vol
	v_and_b32_e32 v0, 1, v0
	s_branch .LBB12_17
.LBB12_22:
	global_load_dwordx2 v[6:7], v[12:13], off
	s_and_saveexec_b64 s[12:13], s[4:5]
	s_cbranch_execz .LBB12_25
; %bb.23:
	v_mov_b32_e32 v10, 0
	global_load_dwordx2 v[8:9], v10, s[10:11] offset:40
	global_load_dwordx2 v[12:13], v10, s[10:11] offset:24 glc
	global_load_dwordx2 v[14:15], v10, s[10:11]
	v_mov_b32_e32 v1, s7
	s_mov_b64 s[4:5], 0
	s_waitcnt vmcnt(2)
	v_add_co_u32_e32 v3, vcc, 1, v8
	v_addc_co_u32_e32 v11, vcc, 0, v9, vcc
	v_add_co_u32_e32 v0, vcc, s6, v3
	v_addc_co_u32_e32 v1, vcc, v11, v1, vcc
	v_cmp_eq_u64_e32 vcc, 0, v[0:1]
	v_cndmask_b32_e32 v1, v1, v11, vcc
	v_cndmask_b32_e32 v0, v0, v3, vcc
	v_and_b32_e32 v3, v1, v9
	v_and_b32_e32 v8, v0, v8
	v_mul_lo_u32 v3, v3, 24
	v_mul_hi_u32 v9, v8, 24
	v_mul_lo_u32 v8, v8, 24
	v_add_u32_e32 v3, v9, v3
	s_waitcnt vmcnt(0)
	v_add_co_u32_e32 v8, vcc, v14, v8
	v_addc_co_u32_e32 v9, vcc, v15, v3, vcc
	v_mov_b32_e32 v2, v12
	global_store_dwordx2 v[8:9], v[12:13], off
	v_mov_b32_e32 v3, v13
	buffer_wbl2
	s_waitcnt vmcnt(0)
	global_atomic_cmpswap_x2 v[2:3], v10, v[0:3], s[10:11] offset:24 glc
	s_waitcnt vmcnt(0)
	v_cmp_ne_u64_e32 vcc, v[2:3], v[12:13]
	s_and_b64 exec, exec, vcc
	s_cbranch_execz .LBB12_25
.LBB12_24:                              ; =>This Inner Loop Header: Depth=1
	s_sleep 1
	global_store_dwordx2 v[8:9], v[2:3], off
	buffer_wbl2
	s_waitcnt vmcnt(0)
	global_atomic_cmpswap_x2 v[12:13], v10, v[0:3], s[10:11] offset:24 glc
	s_waitcnt vmcnt(0)
	v_cmp_eq_u64_e32 vcc, v[12:13], v[2:3]
	s_or_b64 s[4:5], vcc, s[4:5]
	v_pk_mov_b32 v[2:3], v[12:13], v[12:13] op_sel:[0,1]
	s_andn2_b64 exec, exec, s[4:5]
	s_cbranch_execnz .LBB12_24
.LBB12_25:
	s_or_b64 exec, exec, s[12:13]
	v_lshrrev_b32_e64 v1, 6, s33
	s_mov_b64 s[4:5], 0
.LBB12_26:                              ; =>This Inner Loop Header: Depth=1
	buffer_load_ubyte v2, v1, s[0:3], 0 offen
	v_add_u32_e32 v0, 1, v1
	v_mov_b32_e32 v1, v0
	s_waitcnt vmcnt(0)
	v_cmp_eq_u16_e32 vcc, 0, v2
	s_or_b64 s[4:5], vcc, s[4:5]
	s_andn2_b64 exec, exec, s[4:5]
	s_cbranch_execnz .LBB12_26
; %bb.27:
	s_or_b64 exec, exec, s[4:5]
	v_lshrrev_b32_e64 v31, 6, s33
	v_cmp_ne_u32_e32 vcc, -1, v31
	s_cbranch_vccz .LBB12_112
; %bb.28:
	v_lshrrev_b32_e64 v1, 6, s33
	v_subrev_u32_e32 v28, v1, v0
	v_ashrrev_i32_e32 v29, 31, v28
	v_and_b32_e32 v30, 2, v6
	v_mov_b32_e32 v33, 0
	v_and_b32_e32 v0, -3, v6
	v_mov_b32_e32 v1, v7
	s_mov_b64 s[12:13], 0
	s_mov_b32 s20, 0
	s_movk_i32 s21, 0xff1f
	v_mov_b32_e32 v10, 2
	v_mov_b32_e32 v11, 1
	s_branch .LBB12_30
.LBB12_29:                              ;   in Loop: Header=BB12_30 Depth=1
	s_or_b64 exec, exec, s[6:7]
	v_sub_co_u32_e32 v28, vcc, v28, v38
	v_subb_co_u32_e32 v29, vcc, v29, v39, vcc
	v_cmp_eq_u64_e32 vcc, 0, v[28:29]
	s_or_b64 s[12:13], vcc, s[12:13]
	v_add_u32_e32 v31, v31, v38
	s_andn2_b64 exec, exec, s[12:13]
	s_cbranch_execz .LBB12_113
.LBB12_30:                              ; =>This Loop Header: Depth=1
                                        ;     Child Loop BB12_33 Depth 2
                                        ;     Child Loop BB12_41 Depth 2
	;; [unrolled: 1-line block ×11, first 2 shown]
	v_cmp_gt_u64_e32 vcc, 56, v[28:29]
	v_cndmask_b32_e32 v38, 56, v28, vcc
	v_cmp_gt_u64_e64 s[4:5], 8, v[28:29]
                                        ; implicit-def: $vgpr2_vgpr3
                                        ; implicit-def: $sgpr14
	s_and_saveexec_b64 s[6:7], s[4:5]
	s_xor_b64 s[6:7], exec, s[6:7]
	s_cbranch_execz .LBB12_36
; %bb.31:                               ;   in Loop: Header=BB12_30 Depth=1
	s_mov_b64 s[16:17], 0
	v_cmp_ne_u64_e64 s[4:5], 0, v[28:29]
	s_waitcnt vmcnt(0)
	v_pk_mov_b32 v[2:3], 0, 0
	s_and_saveexec_b64 s[14:15], s[4:5]
	s_cbranch_execz .LBB12_35
; %bb.32:                               ;   in Loop: Header=BB12_30 Depth=1
	s_mov_b32 s22, 0
	v_pk_mov_b32 v[2:3], 0, 0
	s_mov_b64 s[18:19], 0
.LBB12_33:                              ;   Parent Loop BB12_30 Depth=1
                                        ; =>  This Inner Loop Header: Depth=2
	v_add_u32_e32 v8, s22, v31
	buffer_load_ubyte v8, v8, s[0:3], 0 offen
	v_mov_b32_e32 v9, s20
	s_add_i32 s22, s22, 1
	v_cmp_eq_u32_e64 s[4:5], s22, v38
	s_waitcnt vmcnt(0)
	v_and_b32_e32 v8, 0xffff, v8
	v_lshlrev_b64 v[8:9], s18, v[8:9]
	s_add_u32 s18, s18, 8
	s_addc_u32 s19, s19, 0
	v_or_b32_e32 v3, v9, v3
	s_or_b64 s[16:17], s[4:5], s[16:17]
	v_or_b32_e32 v2, v8, v2
	s_andn2_b64 exec, exec, s[16:17]
	s_cbranch_execnz .LBB12_33
; %bb.34:                               ;   in Loop: Header=BB12_30 Depth=1
	s_or_b64 exec, exec, s[16:17]
.LBB12_35:                              ;   in Loop: Header=BB12_30 Depth=1
	s_or_b64 exec, exec, s[14:15]
	s_mov_b32 s14, 0
.LBB12_36:                              ;   in Loop: Header=BB12_30 Depth=1
	s_or_saveexec_b64 s[4:5], s[6:7]
	v_mov_b32_e32 v9, s14
	v_mov_b32_e32 v8, v31
	s_xor_b64 exec, exec, s[4:5]
	s_cbranch_execz .LBB12_38
; %bb.37:                               ;   in Loop: Header=BB12_30 Depth=1
	buffer_load_dword v2, v31, s[0:3], 0 offen offset:4
	buffer_load_dword v3, v31, s[0:3], 0 offen
	v_add_u32_e32 v9, -8, v38
	s_waitcnt vmcnt(1)
	v_and_b32_e32 v8, 0xff, v2
	v_and_b32_e32 v12, 0xff00, v2
	s_waitcnt vmcnt(0)
	v_or3_b32 v3, v3, 0, 0
	v_and_b32_e32 v13, 0xff0000, v2
	v_and_b32_e32 v14, 0xff000000, v2
	v_or3_b32 v8, 0, v8, v12
	v_or3_b32 v2, v3, 0, 0
	;; [unrolled: 1-line block ×3, first 2 shown]
	v_add_u32_e32 v8, 8, v31
.LBB12_38:                              ;   in Loop: Header=BB12_30 Depth=1
	s_or_b64 exec, exec, s[4:5]
	v_cmp_gt_u32_e64 s[4:5], 8, v9
                                        ; implicit-def: $vgpr12_vgpr13
                                        ; implicit-def: $sgpr14
	s_and_saveexec_b64 s[6:7], s[4:5]
	s_xor_b64 s[6:7], exec, s[6:7]
	s_cbranch_execz .LBB12_44
; %bb.39:                               ;   in Loop: Header=BB12_30 Depth=1
	v_cmp_ne_u32_e64 s[4:5], 0, v9
	v_pk_mov_b32 v[12:13], 0, 0
	s_and_saveexec_b64 s[14:15], s[4:5]
	s_cbranch_execz .LBB12_43
; %bb.40:                               ;   in Loop: Header=BB12_30 Depth=1
	s_mov_b32 s22, 0
	s_mov_b64 s[16:17], 0
	v_pk_mov_b32 v[12:13], 0, 0
	s_mov_b64 s[18:19], 0
.LBB12_41:                              ;   Parent Loop BB12_30 Depth=1
                                        ; =>  This Inner Loop Header: Depth=2
	v_add_u32_e32 v14, s22, v8
	buffer_load_ubyte v14, v14, s[0:3], 0 offen
	v_mov_b32_e32 v15, s20
	s_add_i32 s22, s22, 1
	v_cmp_eq_u32_e64 s[4:5], s22, v9
	s_waitcnt vmcnt(0)
	v_and_b32_e32 v14, 0xffff, v14
	v_lshlrev_b64 v[14:15], s18, v[14:15]
	s_add_u32 s18, s18, 8
	s_addc_u32 s19, s19, 0
	v_or_b32_e32 v13, v15, v13
	s_or_b64 s[16:17], s[4:5], s[16:17]
	v_or_b32_e32 v12, v14, v12
	s_andn2_b64 exec, exec, s[16:17]
	s_cbranch_execnz .LBB12_41
; %bb.42:                               ;   in Loop: Header=BB12_30 Depth=1
	s_or_b64 exec, exec, s[16:17]
.LBB12_43:                              ;   in Loop: Header=BB12_30 Depth=1
	s_or_b64 exec, exec, s[14:15]
	s_mov_b32 s14, 0
                                        ; implicit-def: $vgpr9
.LBB12_44:                              ;   in Loop: Header=BB12_30 Depth=1
	s_or_saveexec_b64 s[4:5], s[6:7]
	v_mov_b32_e32 v16, s14
	s_xor_b64 exec, exec, s[4:5]
	s_cbranch_execz .LBB12_46
; %bb.45:                               ;   in Loop: Header=BB12_30 Depth=1
	buffer_load_dword v12, v8, s[0:3], 0 offen offset:4
	buffer_load_dword v13, v8, s[0:3], 0 offen
	v_add_u32_e32 v16, -8, v9
	v_add_u32_e32 v8, 8, v8
	s_waitcnt vmcnt(1)
	v_and_b32_e32 v9, 0xff, v12
	v_and_b32_e32 v14, 0xff00, v12
	s_waitcnt vmcnt(0)
	v_or3_b32 v13, v13, 0, 0
	v_and_b32_e32 v15, 0xff0000, v12
	v_and_b32_e32 v17, 0xff000000, v12
	v_or3_b32 v9, 0, v9, v14
	v_or3_b32 v12, v13, 0, 0
	;; [unrolled: 1-line block ×3, first 2 shown]
.LBB12_46:                              ;   in Loop: Header=BB12_30 Depth=1
	s_or_b64 exec, exec, s[4:5]
	v_cmp_gt_u32_e64 s[4:5], 8, v16
                                        ; implicit-def: $sgpr14
	s_and_saveexec_b64 s[6:7], s[4:5]
	s_xor_b64 s[6:7], exec, s[6:7]
	s_cbranch_execz .LBB12_52
; %bb.47:                               ;   in Loop: Header=BB12_30 Depth=1
	v_cmp_ne_u32_e64 s[4:5], 0, v16
	v_pk_mov_b32 v[14:15], 0, 0
	s_and_saveexec_b64 s[14:15], s[4:5]
	s_cbranch_execz .LBB12_51
; %bb.48:                               ;   in Loop: Header=BB12_30 Depth=1
	s_mov_b32 s22, 0
	s_mov_b64 s[16:17], 0
	v_pk_mov_b32 v[14:15], 0, 0
	s_mov_b64 s[18:19], 0
.LBB12_49:                              ;   Parent Loop BB12_30 Depth=1
                                        ; =>  This Inner Loop Header: Depth=2
	v_add_u32_e32 v9, s22, v8
	buffer_load_ubyte v9, v9, s[0:3], 0 offen
	v_mov_b32_e32 v19, s20
	s_add_i32 s22, s22, 1
	v_cmp_eq_u32_e64 s[4:5], s22, v16
	s_waitcnt vmcnt(0)
	v_and_b32_e32 v18, 0xffff, v9
	v_lshlrev_b64 v[18:19], s18, v[18:19]
	s_add_u32 s18, s18, 8
	s_addc_u32 s19, s19, 0
	v_or_b32_e32 v15, v19, v15
	s_or_b64 s[16:17], s[4:5], s[16:17]
	v_or_b32_e32 v14, v18, v14
	s_andn2_b64 exec, exec, s[16:17]
	s_cbranch_execnz .LBB12_49
; %bb.50:                               ;   in Loop: Header=BB12_30 Depth=1
	s_or_b64 exec, exec, s[16:17]
.LBB12_51:                              ;   in Loop: Header=BB12_30 Depth=1
	s_or_b64 exec, exec, s[14:15]
	s_mov_b32 s14, 0
                                        ; implicit-def: $vgpr16
.LBB12_52:                              ;   in Loop: Header=BB12_30 Depth=1
	s_or_saveexec_b64 s[4:5], s[6:7]
	v_mov_b32_e32 v9, s14
	s_xor_b64 exec, exec, s[4:5]
	s_cbranch_execz .LBB12_54
; %bb.53:                               ;   in Loop: Header=BB12_30 Depth=1
	buffer_load_dword v14, v8, s[0:3], 0 offen offset:4
	buffer_load_dword v15, v8, s[0:3], 0 offen
	v_add_u32_e32 v9, -8, v16
	v_add_u32_e32 v8, 8, v8
	s_waitcnt vmcnt(1)
	v_and_b32_e32 v16, 0xff, v14
	v_and_b32_e32 v17, 0xff00, v14
	s_waitcnt vmcnt(0)
	v_or3_b32 v15, v15, 0, 0
	v_and_b32_e32 v18, 0xff0000, v14
	v_and_b32_e32 v19, 0xff000000, v14
	v_or3_b32 v16, 0, v16, v17
	v_or3_b32 v14, v15, 0, 0
	;; [unrolled: 1-line block ×3, first 2 shown]
.LBB12_54:                              ;   in Loop: Header=BB12_30 Depth=1
	s_or_b64 exec, exec, s[4:5]
	v_cmp_gt_u32_e64 s[4:5], 8, v9
                                        ; implicit-def: $vgpr16_vgpr17
                                        ; implicit-def: $sgpr14
	s_and_saveexec_b64 s[6:7], s[4:5]
	s_xor_b64 s[6:7], exec, s[6:7]
	s_cbranch_execz .LBB12_60
; %bb.55:                               ;   in Loop: Header=BB12_30 Depth=1
	v_cmp_ne_u32_e64 s[4:5], 0, v9
	v_pk_mov_b32 v[16:17], 0, 0
	s_and_saveexec_b64 s[14:15], s[4:5]
	s_cbranch_execz .LBB12_59
; %bb.56:                               ;   in Loop: Header=BB12_30 Depth=1
	s_mov_b32 s22, 0
	s_mov_b64 s[16:17], 0
	v_pk_mov_b32 v[16:17], 0, 0
	s_mov_b64 s[18:19], 0
.LBB12_57:                              ;   Parent Loop BB12_30 Depth=1
                                        ; =>  This Inner Loop Header: Depth=2
	v_add_u32_e32 v18, s22, v8
	buffer_load_ubyte v18, v18, s[0:3], 0 offen
	v_mov_b32_e32 v19, s20
	s_add_i32 s22, s22, 1
	v_cmp_eq_u32_e64 s[4:5], s22, v9
	s_waitcnt vmcnt(0)
	v_and_b32_e32 v18, 0xffff, v18
	v_lshlrev_b64 v[18:19], s18, v[18:19]
	s_add_u32 s18, s18, 8
	s_addc_u32 s19, s19, 0
	v_or_b32_e32 v17, v19, v17
	s_or_b64 s[16:17], s[4:5], s[16:17]
	v_or_b32_e32 v16, v18, v16
	s_andn2_b64 exec, exec, s[16:17]
	s_cbranch_execnz .LBB12_57
; %bb.58:                               ;   in Loop: Header=BB12_30 Depth=1
	s_or_b64 exec, exec, s[16:17]
.LBB12_59:                              ;   in Loop: Header=BB12_30 Depth=1
	s_or_b64 exec, exec, s[14:15]
	s_mov_b32 s14, 0
                                        ; implicit-def: $vgpr9
.LBB12_60:                              ;   in Loop: Header=BB12_30 Depth=1
	s_or_saveexec_b64 s[4:5], s[6:7]
	v_mov_b32_e32 v20, s14
	s_xor_b64 exec, exec, s[4:5]
	s_cbranch_execz .LBB12_62
; %bb.61:                               ;   in Loop: Header=BB12_30 Depth=1
	buffer_load_dword v16, v8, s[0:3], 0 offen offset:4
	buffer_load_dword v17, v8, s[0:3], 0 offen
	v_add_u32_e32 v20, -8, v9
	v_add_u32_e32 v8, 8, v8
	s_waitcnt vmcnt(1)
	v_and_b32_e32 v9, 0xff, v16
	v_and_b32_e32 v18, 0xff00, v16
	s_waitcnt vmcnt(0)
	v_or3_b32 v17, v17, 0, 0
	v_and_b32_e32 v19, 0xff0000, v16
	v_and_b32_e32 v21, 0xff000000, v16
	v_or3_b32 v9, 0, v9, v18
	v_or3_b32 v16, v17, 0, 0
	;; [unrolled: 1-line block ×3, first 2 shown]
.LBB12_62:                              ;   in Loop: Header=BB12_30 Depth=1
	s_or_b64 exec, exec, s[4:5]
	v_cmp_gt_u32_e64 s[4:5], 8, v20
                                        ; implicit-def: $sgpr14
	s_and_saveexec_b64 s[6:7], s[4:5]
	s_xor_b64 s[6:7], exec, s[6:7]
	s_cbranch_execz .LBB12_68
; %bb.63:                               ;   in Loop: Header=BB12_30 Depth=1
	v_cmp_ne_u32_e64 s[4:5], 0, v20
	v_pk_mov_b32 v[18:19], 0, 0
	s_and_saveexec_b64 s[14:15], s[4:5]
	s_cbranch_execz .LBB12_67
; %bb.64:                               ;   in Loop: Header=BB12_30 Depth=1
	s_mov_b32 s22, 0
	s_mov_b64 s[16:17], 0
	v_pk_mov_b32 v[18:19], 0, 0
	s_mov_b64 s[18:19], 0
.LBB12_65:                              ;   Parent Loop BB12_30 Depth=1
                                        ; =>  This Inner Loop Header: Depth=2
	v_add_u32_e32 v9, s22, v8
	buffer_load_ubyte v9, v9, s[0:3], 0 offen
	v_mov_b32_e32 v23, s20
	s_add_i32 s22, s22, 1
	v_cmp_eq_u32_e64 s[4:5], s22, v20
	s_waitcnt vmcnt(0)
	v_and_b32_e32 v22, 0xffff, v9
	v_lshlrev_b64 v[22:23], s18, v[22:23]
	s_add_u32 s18, s18, 8
	s_addc_u32 s19, s19, 0
	v_or_b32_e32 v19, v23, v19
	s_or_b64 s[16:17], s[4:5], s[16:17]
	v_or_b32_e32 v18, v22, v18
	s_andn2_b64 exec, exec, s[16:17]
	s_cbranch_execnz .LBB12_65
; %bb.66:                               ;   in Loop: Header=BB12_30 Depth=1
	s_or_b64 exec, exec, s[16:17]
.LBB12_67:                              ;   in Loop: Header=BB12_30 Depth=1
	s_or_b64 exec, exec, s[14:15]
	s_mov_b32 s14, 0
                                        ; implicit-def: $vgpr20
.LBB12_68:                              ;   in Loop: Header=BB12_30 Depth=1
	s_or_saveexec_b64 s[4:5], s[6:7]
	v_mov_b32_e32 v9, s14
	s_xor_b64 exec, exec, s[4:5]
	s_cbranch_execz .LBB12_70
; %bb.69:                               ;   in Loop: Header=BB12_30 Depth=1
	buffer_load_dword v18, v8, s[0:3], 0 offen offset:4
	buffer_load_dword v19, v8, s[0:3], 0 offen
	v_add_u32_e32 v9, -8, v20
	v_add_u32_e32 v8, 8, v8
	s_waitcnt vmcnt(1)
	v_and_b32_e32 v20, 0xff, v18
	v_and_b32_e32 v21, 0xff00, v18
	s_waitcnt vmcnt(0)
	v_or3_b32 v19, v19, 0, 0
	v_and_b32_e32 v22, 0xff0000, v18
	v_and_b32_e32 v23, 0xff000000, v18
	v_or3_b32 v20, 0, v20, v21
	v_or3_b32 v18, v19, 0, 0
	;; [unrolled: 1-line block ×3, first 2 shown]
.LBB12_70:                              ;   in Loop: Header=BB12_30 Depth=1
	s_or_b64 exec, exec, s[4:5]
	v_cmp_gt_u32_e64 s[4:5], 8, v9
                                        ; implicit-def: $vgpr20_vgpr21
                                        ; implicit-def: $sgpr14
	s_and_saveexec_b64 s[6:7], s[4:5]
	s_xor_b64 s[6:7], exec, s[6:7]
	s_cbranch_execz .LBB12_76
; %bb.71:                               ;   in Loop: Header=BB12_30 Depth=1
	v_cmp_ne_u32_e64 s[4:5], 0, v9
	v_pk_mov_b32 v[20:21], 0, 0
	s_and_saveexec_b64 s[14:15], s[4:5]
	s_cbranch_execz .LBB12_75
; %bb.72:                               ;   in Loop: Header=BB12_30 Depth=1
	s_mov_b32 s22, 0
	s_mov_b64 s[16:17], 0
	v_pk_mov_b32 v[20:21], 0, 0
	s_mov_b64 s[18:19], 0
.LBB12_73:                              ;   Parent Loop BB12_30 Depth=1
                                        ; =>  This Inner Loop Header: Depth=2
	v_add_u32_e32 v22, s22, v8
	buffer_load_ubyte v22, v22, s[0:3], 0 offen
	v_mov_b32_e32 v23, s20
	s_add_i32 s22, s22, 1
	v_cmp_eq_u32_e64 s[4:5], s22, v9
	s_waitcnt vmcnt(0)
	v_and_b32_e32 v22, 0xffff, v22
	v_lshlrev_b64 v[22:23], s18, v[22:23]
	s_add_u32 s18, s18, 8
	s_addc_u32 s19, s19, 0
	v_or_b32_e32 v21, v23, v21
	s_or_b64 s[16:17], s[4:5], s[16:17]
	v_or_b32_e32 v20, v22, v20
	s_andn2_b64 exec, exec, s[16:17]
	s_cbranch_execnz .LBB12_73
; %bb.74:                               ;   in Loop: Header=BB12_30 Depth=1
	s_or_b64 exec, exec, s[16:17]
.LBB12_75:                              ;   in Loop: Header=BB12_30 Depth=1
	s_or_b64 exec, exec, s[14:15]
	s_mov_b32 s14, 0
                                        ; implicit-def: $vgpr9
.LBB12_76:                              ;   in Loop: Header=BB12_30 Depth=1
	s_or_saveexec_b64 s[4:5], s[6:7]
	v_mov_b32_e32 v24, s14
	s_xor_b64 exec, exec, s[4:5]
	s_cbranch_execz .LBB12_78
; %bb.77:                               ;   in Loop: Header=BB12_30 Depth=1
	buffer_load_dword v20, v8, s[0:3], 0 offen offset:4
	buffer_load_dword v21, v8, s[0:3], 0 offen
	v_add_u32_e32 v24, -8, v9
	v_add_u32_e32 v8, 8, v8
	s_waitcnt vmcnt(1)
	v_and_b32_e32 v9, 0xff, v20
	v_and_b32_e32 v22, 0xff00, v20
	s_waitcnt vmcnt(0)
	v_or3_b32 v21, v21, 0, 0
	v_and_b32_e32 v23, 0xff0000, v20
	v_and_b32_e32 v25, 0xff000000, v20
	v_or3_b32 v9, 0, v9, v22
	v_or3_b32 v20, v21, 0, 0
	;; [unrolled: 1-line block ×3, first 2 shown]
.LBB12_78:                              ;   in Loop: Header=BB12_30 Depth=1
	s_or_b64 exec, exec, s[4:5]
	v_cmp_gt_u32_e64 s[4:5], 8, v24
	s_and_saveexec_b64 s[6:7], s[4:5]
	s_xor_b64 s[6:7], exec, s[6:7]
	s_cbranch_execz .LBB12_84
; %bb.79:                               ;   in Loop: Header=BB12_30 Depth=1
	v_cmp_ne_u32_e64 s[4:5], 0, v24
	v_pk_mov_b32 v[22:23], 0, 0
	s_and_saveexec_b64 s[14:15], s[4:5]
	s_cbranch_execz .LBB12_83
; %bb.80:                               ;   in Loop: Header=BB12_30 Depth=1
	s_mov_b64 s[16:17], 0
	v_pk_mov_b32 v[22:23], 0, 0
	s_mov_b64 s[18:19], 0
.LBB12_81:                              ;   Parent Loop BB12_30 Depth=1
                                        ; =>  This Inner Loop Header: Depth=2
	buffer_load_ubyte v9, v8, s[0:3], 0 offen
	v_mov_b32_e32 v27, s20
	v_add_u32_e32 v24, -1, v24
	v_cmp_eq_u32_e64 s[4:5], 0, v24
	v_add_u32_e32 v8, 1, v8
	s_waitcnt vmcnt(0)
	v_and_b32_e32 v26, 0xffff, v9
	v_lshlrev_b64 v[26:27], s18, v[26:27]
	s_add_u32 s18, s18, 8
	s_addc_u32 s19, s19, 0
	v_or_b32_e32 v23, v27, v23
	s_or_b64 s[16:17], s[4:5], s[16:17]
	v_or_b32_e32 v22, v26, v22
	s_andn2_b64 exec, exec, s[16:17]
	s_cbranch_execnz .LBB12_81
; %bb.82:                               ;   in Loop: Header=BB12_30 Depth=1
	s_or_b64 exec, exec, s[16:17]
.LBB12_83:                              ;   in Loop: Header=BB12_30 Depth=1
	s_or_b64 exec, exec, s[14:15]
                                        ; implicit-def: $vgpr8
.LBB12_84:                              ;   in Loop: Header=BB12_30 Depth=1
	s_andn2_saveexec_b64 s[4:5], s[6:7]
	s_cbranch_execz .LBB12_86
; %bb.85:                               ;   in Loop: Header=BB12_30 Depth=1
	buffer_load_dword v9, v8, s[0:3], 0 offen offset:4
	buffer_load_dword v22, v8, s[0:3], 0 offen
	s_waitcnt vmcnt(1)
	v_and_b32_e32 v8, 0xff, v9
	v_and_b32_e32 v23, 0xff00, v9
	s_waitcnt vmcnt(0)
	v_or3_b32 v22, v22, 0, 0
	v_and_b32_e32 v24, 0xff0000, v9
	v_and_b32_e32 v9, 0xff000000, v9
	v_or3_b32 v8, 0, v8, v23
	v_or3_b32 v23, v8, v24, v9
	;; [unrolled: 1-line block ×3, first 2 shown]
.LBB12_86:                              ;   in Loop: Header=BB12_30 Depth=1
	s_or_b64 exec, exec, s[4:5]
	v_readfirstlane_b32 s4, v37
	v_cmp_eq_u32_e64 s[4:5], s4, v37
	v_pk_mov_b32 v[8:9], 0, 0
	s_and_saveexec_b64 s[14:15], s[4:5]
	s_cbranch_execz .LBB12_92
; %bb.87:                               ;   in Loop: Header=BB12_30 Depth=1
	global_load_dwordx2 v[26:27], v33, s[10:11] offset:24 glc
	s_waitcnt vmcnt(0)
	buffer_invl2
	buffer_wbinvl1_vol
	global_load_dwordx2 v[8:9], v33, s[10:11] offset:40
	global_load_dwordx2 v[24:25], v33, s[10:11]
	s_waitcnt vmcnt(1)
	v_and_b32_e32 v8, v8, v26
	v_and_b32_e32 v9, v9, v27
	v_mul_lo_u32 v9, v9, 24
	v_mul_hi_u32 v32, v8, 24
	v_mul_lo_u32 v8, v8, 24
	v_add_u32_e32 v9, v32, v9
	s_waitcnt vmcnt(0)
	v_add_co_u32_e64 v8, s[6:7], v24, v8
	v_addc_co_u32_e64 v9, s[6:7], v25, v9, s[6:7]
	global_load_dwordx2 v[24:25], v[8:9], off glc
	s_waitcnt vmcnt(0)
	global_atomic_cmpswap_x2 v[8:9], v33, v[24:27], s[10:11] offset:24 glc
	s_waitcnt vmcnt(0)
	buffer_invl2
	buffer_wbinvl1_vol
	v_cmp_ne_u64_e64 s[6:7], v[8:9], v[26:27]
	s_and_saveexec_b64 s[16:17], s[6:7]
	s_cbranch_execz .LBB12_91
; %bb.88:                               ;   in Loop: Header=BB12_30 Depth=1
	s_mov_b64 s[18:19], 0
.LBB12_89:                              ;   Parent Loop BB12_30 Depth=1
                                        ; =>  This Inner Loop Header: Depth=2
	s_sleep 1
	global_load_dwordx2 v[24:25], v33, s[10:11] offset:40
	global_load_dwordx2 v[34:35], v33, s[10:11]
	v_pk_mov_b32 v[26:27], v[8:9], v[8:9] op_sel:[0,1]
	s_waitcnt vmcnt(1)
	v_and_b32_e32 v8, v24, v26
	s_waitcnt vmcnt(0)
	v_mad_u64_u32 v[8:9], s[6:7], v8, 24, v[34:35]
	v_and_b32_e32 v25, v25, v27
	v_mov_b32_e32 v24, v9
	v_mad_u64_u32 v[24:25], s[6:7], v25, 24, v[24:25]
	v_mov_b32_e32 v9, v24
	global_load_dwordx2 v[24:25], v[8:9], off glc
	s_waitcnt vmcnt(0)
	global_atomic_cmpswap_x2 v[8:9], v33, v[24:27], s[10:11] offset:24 glc
	s_waitcnt vmcnt(0)
	buffer_invl2
	buffer_wbinvl1_vol
	v_cmp_eq_u64_e64 s[6:7], v[8:9], v[26:27]
	s_or_b64 s[18:19], s[6:7], s[18:19]
	s_andn2_b64 exec, exec, s[18:19]
	s_cbranch_execnz .LBB12_89
; %bb.90:                               ;   in Loop: Header=BB12_30 Depth=1
	s_or_b64 exec, exec, s[18:19]
.LBB12_91:                              ;   in Loop: Header=BB12_30 Depth=1
	s_or_b64 exec, exec, s[16:17]
.LBB12_92:                              ;   in Loop: Header=BB12_30 Depth=1
	s_or_b64 exec, exec, s[14:15]
	global_load_dwordx2 v[34:35], v33, s[10:11] offset:40
	global_load_dwordx4 v[24:27], v33, s[10:11]
	v_readfirstlane_b32 s14, v8
	v_readfirstlane_b32 s15, v9
	s_mov_b64 s[16:17], exec
	s_waitcnt vmcnt(1)
	v_readfirstlane_b32 s6, v34
	v_readfirstlane_b32 s7, v35
	s_and_b64 s[18:19], s[14:15], s[6:7]
	s_mul_i32 s6, s19, 24
	s_mul_hi_u32 s7, s18, 24
	s_mul_i32 s22, s18, 24
	s_add_i32 s6, s7, s6
	v_mov_b32_e32 v8, s6
	s_waitcnt vmcnt(0)
	v_add_co_u32_e64 v34, s[6:7], s22, v24
	v_addc_co_u32_e64 v35, s[6:7], v25, v8, s[6:7]
	s_and_saveexec_b64 s[6:7], s[4:5]
	s_cbranch_execz .LBB12_94
; %bb.93:                               ;   in Loop: Header=BB12_30 Depth=1
	v_pk_mov_b32 v[8:9], s[16:17], s[16:17] op_sel:[0,1]
	global_store_dwordx4 v[34:35], v[8:11], off offset:8
.LBB12_94:                              ;   in Loop: Header=BB12_30 Depth=1
	s_or_b64 exec, exec, s[6:7]
	s_lshl_b64 s[6:7], s[18:19], 12
	v_cndmask_b32_e32 v39, 0, v29, vcc
	v_mov_b32_e32 v9, s7
	v_add_co_u32_e32 v8, vcc, s6, v26
	v_addc_co_u32_e32 v9, vcc, v27, v9, vcc
	v_or_b32_e32 v26, 0, v1
	v_cmp_lt_u64_e32 vcc, 56, v[28:29]
	v_or_b32_e32 v27, v0, v30
	v_cndmask_b32_e32 v1, v26, v1, vcc
	v_lshl_add_u32 v26, v38, 2, 28
	v_cndmask_b32_e32 v0, v27, v0, vcc
	v_and_b32_e32 v26, 0x1e0, v26
	v_and_or_b32 v0, v0, s21, v26
	v_readfirstlane_b32 s6, v8
	v_readfirstlane_b32 s7, v9
	s_nop 4
	global_store_dwordx4 v36, v[0:3], s[6:7]
	global_store_dwordx4 v36, v[12:15], s[6:7] offset:16
	global_store_dwordx4 v36, v[16:19], s[6:7] offset:32
	global_store_dwordx4 v36, v[20:23], s[6:7] offset:48
	s_and_saveexec_b64 s[6:7], s[4:5]
	s_cbranch_execz .LBB12_102
; %bb.95:                               ;   in Loop: Header=BB12_30 Depth=1
	global_load_dwordx2 v[16:17], v33, s[10:11] offset:32 glc
	global_load_dwordx2 v[0:1], v33, s[10:11] offset:40
	v_mov_b32_e32 v14, s14
	v_mov_b32_e32 v15, s15
	s_waitcnt vmcnt(0)
	v_readfirstlane_b32 s16, v0
	v_readfirstlane_b32 s17, v1
	s_and_b64 s[16:17], s[16:17], s[14:15]
	s_mul_i32 s17, s17, 24
	s_mul_hi_u32 s18, s16, 24
	s_mul_i32 s16, s16, 24
	s_add_i32 s17, s18, s17
	v_mov_b32_e32 v0, s17
	v_add_co_u32_e32 v12, vcc, s16, v24
	v_addc_co_u32_e32 v13, vcc, v25, v0, vcc
	global_store_dwordx2 v[12:13], v[16:17], off
	buffer_wbl2
	s_waitcnt vmcnt(0)
	global_atomic_cmpswap_x2 v[2:3], v33, v[14:17], s[10:11] offset:32 glc
	s_waitcnt vmcnt(0)
	v_cmp_ne_u64_e32 vcc, v[2:3], v[16:17]
	s_and_saveexec_b64 s[16:17], vcc
	s_cbranch_execz .LBB12_98
; %bb.96:                               ;   in Loop: Header=BB12_30 Depth=1
	s_mov_b64 s[18:19], 0
.LBB12_97:                              ;   Parent Loop BB12_30 Depth=1
                                        ; =>  This Inner Loop Header: Depth=2
	s_sleep 1
	global_store_dwordx2 v[12:13], v[2:3], off
	v_mov_b32_e32 v0, s14
	v_mov_b32_e32 v1, s15
	buffer_wbl2
	s_waitcnt vmcnt(0)
	global_atomic_cmpswap_x2 v[0:1], v33, v[0:3], s[10:11] offset:32 glc
	s_waitcnt vmcnt(0)
	v_cmp_eq_u64_e32 vcc, v[0:1], v[2:3]
	s_or_b64 s[18:19], vcc, s[18:19]
	v_pk_mov_b32 v[2:3], v[0:1], v[0:1] op_sel:[0,1]
	s_andn2_b64 exec, exec, s[18:19]
	s_cbranch_execnz .LBB12_97
.LBB12_98:                              ;   in Loop: Header=BB12_30 Depth=1
	s_or_b64 exec, exec, s[16:17]
	global_load_dwordx2 v[0:1], v33, s[10:11] offset:16
	s_mov_b64 s[18:19], exec
	v_mbcnt_lo_u32_b32 v2, s18, 0
	v_mbcnt_hi_u32_b32 v2, s19, v2
	v_cmp_eq_u32_e32 vcc, 0, v2
	s_and_saveexec_b64 s[16:17], vcc
	s_cbranch_execz .LBB12_100
; %bb.99:                               ;   in Loop: Header=BB12_30 Depth=1
	s_bcnt1_i32_b64 s18, s[18:19]
	v_mov_b32_e32 v32, s18
	buffer_wbl2
	s_waitcnt vmcnt(0)
	global_atomic_add_x2 v[0:1], v[32:33], off offset:8
.LBB12_100:                             ;   in Loop: Header=BB12_30 Depth=1
	s_or_b64 exec, exec, s[16:17]
	s_waitcnt vmcnt(0)
	global_load_dwordx2 v[2:3], v[0:1], off offset:16
	s_waitcnt vmcnt(0)
	v_cmp_eq_u64_e32 vcc, 0, v[2:3]
	s_cbranch_vccnz .LBB12_102
; %bb.101:                              ;   in Loop: Header=BB12_30 Depth=1
	global_load_dword v32, v[0:1], off offset:24
	s_waitcnt vmcnt(0)
	v_and_b32_e32 v0, 0xffffff, v32
	v_readfirstlane_b32 m0, v0
	buffer_wbl2
	global_store_dwordx2 v[2:3], v[32:33], off
	s_sendmsg sendmsg(MSG_INTERRUPT)
.LBB12_102:                             ;   in Loop: Header=BB12_30 Depth=1
	s_or_b64 exec, exec, s[6:7]
	v_add_co_u32_e32 v0, vcc, v8, v36
	v_addc_co_u32_e32 v1, vcc, 0, v9, vcc
	s_branch .LBB12_106
.LBB12_103:                             ;   in Loop: Header=BB12_106 Depth=2
	s_or_b64 exec, exec, s[6:7]
	v_readfirstlane_b32 s6, v2
	s_cmp_eq_u32 s6, 0
	s_cbranch_scc1 .LBB12_105
; %bb.104:                              ;   in Loop: Header=BB12_106 Depth=2
	s_sleep 1
	s_cbranch_execnz .LBB12_106
	s_branch .LBB12_108
.LBB12_105:                             ;   in Loop: Header=BB12_30 Depth=1
	s_branch .LBB12_108
.LBB12_106:                             ;   Parent Loop BB12_30 Depth=1
                                        ; =>  This Inner Loop Header: Depth=2
	v_mov_b32_e32 v2, 1
	s_and_saveexec_b64 s[6:7], s[4:5]
	s_cbranch_execz .LBB12_103
; %bb.107:                              ;   in Loop: Header=BB12_106 Depth=2
	global_load_dword v2, v[34:35], off offset:20 glc
	s_waitcnt vmcnt(0)
	buffer_invl2
	buffer_wbinvl1_vol
	v_and_b32_e32 v2, 1, v2
	s_branch .LBB12_103
.LBB12_108:                             ;   in Loop: Header=BB12_30 Depth=1
	global_load_dwordx4 v[0:3], v[0:1], off
	s_and_saveexec_b64 s[6:7], s[4:5]
	s_cbranch_execz .LBB12_29
; %bb.109:                              ;   in Loop: Header=BB12_30 Depth=1
	global_load_dwordx2 v[2:3], v33, s[10:11] offset:40
	global_load_dwordx2 v[8:9], v33, s[10:11] offset:24 glc
	global_load_dwordx2 v[16:17], v33, s[10:11]
	v_mov_b32_e32 v13, s15
	s_waitcnt vmcnt(2)
	v_add_co_u32_e32 v15, vcc, 1, v2
	v_addc_co_u32_e32 v18, vcc, 0, v3, vcc
	v_add_co_u32_e32 v12, vcc, s14, v15
	v_addc_co_u32_e32 v13, vcc, v18, v13, vcc
	v_cmp_eq_u64_e32 vcc, 0, v[12:13]
	v_cndmask_b32_e32 v13, v13, v18, vcc
	v_cndmask_b32_e32 v12, v12, v15, vcc
	v_and_b32_e32 v3, v13, v3
	v_and_b32_e32 v2, v12, v2
	v_mul_lo_u32 v3, v3, 24
	v_mul_hi_u32 v15, v2, 24
	v_mul_lo_u32 v2, v2, 24
	v_add_u32_e32 v3, v15, v3
	s_waitcnt vmcnt(0)
	v_add_co_u32_e32 v2, vcc, v16, v2
	v_addc_co_u32_e32 v3, vcc, v17, v3, vcc
	v_mov_b32_e32 v14, v8
	global_store_dwordx2 v[2:3], v[8:9], off
	v_mov_b32_e32 v15, v9
	buffer_wbl2
	s_waitcnt vmcnt(0)
	global_atomic_cmpswap_x2 v[14:15], v33, v[12:15], s[10:11] offset:24 glc
	s_waitcnt vmcnt(0)
	v_cmp_ne_u64_e32 vcc, v[14:15], v[8:9]
	s_and_b64 exec, exec, vcc
	s_cbranch_execz .LBB12_29
; %bb.110:                              ;   in Loop: Header=BB12_30 Depth=1
	s_mov_b64 s[4:5], 0
.LBB12_111:                             ;   Parent Loop BB12_30 Depth=1
                                        ; =>  This Inner Loop Header: Depth=2
	s_sleep 1
	global_store_dwordx2 v[2:3], v[14:15], off
	buffer_wbl2
	s_waitcnt vmcnt(0)
	global_atomic_cmpswap_x2 v[8:9], v33, v[12:15], s[10:11] offset:24 glc
	s_waitcnt vmcnt(0)
	v_cmp_eq_u64_e32 vcc, v[8:9], v[14:15]
	s_or_b64 s[4:5], vcc, s[4:5]
	v_pk_mov_b32 v[14:15], v[8:9], v[8:9] op_sel:[0,1]
	s_andn2_b64 exec, exec, s[4:5]
	s_cbranch_execnz .LBB12_111
	s_branch .LBB12_29
.LBB12_112:
                                        ; implicit-def: $vgpr0_vgpr1
	s_cbranch_execnz .LBB12_114
	s_branch .LBB12_140
.LBB12_113:
	s_or_b64 exec, exec, s[12:13]
	s_branch .LBB12_140
.LBB12_114:
	v_readfirstlane_b32 s4, v37
	v_cmp_eq_u32_e64 s[4:5], s4, v37
	v_pk_mov_b32 v[10:11], 0, 0
	s_and_saveexec_b64 s[6:7], s[4:5]
	s_cbranch_execz .LBB12_120
; %bb.115:
	s_waitcnt vmcnt(0)
	v_mov_b32_e32 v0, 0
	global_load_dwordx2 v[12:13], v0, s[10:11] offset:24 glc
	s_waitcnt vmcnt(0)
	buffer_invl2
	buffer_wbinvl1_vol
	global_load_dwordx2 v[2:3], v0, s[10:11] offset:40
	global_load_dwordx2 v[8:9], v0, s[10:11]
	s_waitcnt vmcnt(1)
	v_and_b32_e32 v1, v2, v12
	v_and_b32_e32 v2, v3, v13
	v_mul_lo_u32 v2, v2, 24
	v_mul_hi_u32 v3, v1, 24
	v_mul_lo_u32 v1, v1, 24
	v_add_u32_e32 v3, v3, v2
	s_waitcnt vmcnt(0)
	v_add_co_u32_e32 v2, vcc, v8, v1
	v_addc_co_u32_e32 v3, vcc, v9, v3, vcc
	global_load_dwordx2 v[10:11], v[2:3], off glc
	s_waitcnt vmcnt(0)
	global_atomic_cmpswap_x2 v[10:11], v0, v[10:13], s[10:11] offset:24 glc
	s_waitcnt vmcnt(0)
	buffer_invl2
	buffer_wbinvl1_vol
	v_cmp_ne_u64_e32 vcc, v[10:11], v[12:13]
	s_and_saveexec_b64 s[12:13], vcc
	s_cbranch_execz .LBB12_119
; %bb.116:
	s_mov_b64 s[14:15], 0
.LBB12_117:                             ; =>This Inner Loop Header: Depth=1
	s_sleep 1
	global_load_dwordx2 v[2:3], v0, s[10:11] offset:40
	global_load_dwordx2 v[8:9], v0, s[10:11]
	v_pk_mov_b32 v[12:13], v[10:11], v[10:11] op_sel:[0,1]
	s_waitcnt vmcnt(1)
	v_and_b32_e32 v2, v2, v12
	v_and_b32_e32 v1, v3, v13
	s_waitcnt vmcnt(0)
	v_mad_u64_u32 v[2:3], s[16:17], v2, 24, v[8:9]
	v_mov_b32_e32 v8, v3
	v_mad_u64_u32 v[8:9], s[16:17], v1, 24, v[8:9]
	v_mov_b32_e32 v3, v8
	global_load_dwordx2 v[10:11], v[2:3], off glc
	s_waitcnt vmcnt(0)
	global_atomic_cmpswap_x2 v[10:11], v0, v[10:13], s[10:11] offset:24 glc
	s_waitcnt vmcnt(0)
	buffer_invl2
	buffer_wbinvl1_vol
	v_cmp_eq_u64_e32 vcc, v[10:11], v[12:13]
	s_or_b64 s[14:15], vcc, s[14:15]
	s_andn2_b64 exec, exec, s[14:15]
	s_cbranch_execnz .LBB12_117
; %bb.118:
	s_or_b64 exec, exec, s[14:15]
.LBB12_119:
	s_or_b64 exec, exec, s[12:13]
.LBB12_120:
	s_or_b64 exec, exec, s[6:7]
	v_mov_b32_e32 v8, 0
	global_load_dwordx2 v[12:13], v8, s[10:11] offset:40
	global_load_dwordx4 v[0:3], v8, s[10:11]
	v_readfirstlane_b32 s6, v10
	v_readfirstlane_b32 s7, v11
	s_mov_b64 s[12:13], exec
	s_waitcnt vmcnt(1)
	v_readfirstlane_b32 s14, v12
	v_readfirstlane_b32 s15, v13
	s_and_b64 s[14:15], s[6:7], s[14:15]
	s_mul_i32 s16, s15, 24
	s_mul_hi_u32 s17, s14, 24
	s_mul_i32 s18, s14, 24
	s_add_i32 s16, s17, s16
	v_mov_b32_e32 v9, s16
	s_waitcnt vmcnt(0)
	v_add_co_u32_e32 v10, vcc, s18, v0
	v_addc_co_u32_e32 v11, vcc, v1, v9, vcc
	s_and_saveexec_b64 s[16:17], s[4:5]
	s_cbranch_execz .LBB12_122
; %bb.121:
	v_pk_mov_b32 v[12:13], s[12:13], s[12:13] op_sel:[0,1]
	v_mov_b32_e32 v14, 2
	v_mov_b32_e32 v15, 1
	global_store_dwordx4 v[10:11], v[12:15], off offset:8
.LBB12_122:
	s_or_b64 exec, exec, s[16:17]
	s_lshl_b64 s[12:13], s[14:15], 12
	v_mov_b32_e32 v9, s13
	v_add_co_u32_e32 v2, vcc, s12, v2
	s_movk_i32 s12, 0xff1f
	v_addc_co_u32_e32 v3, vcc, v3, v9, vcc
	v_and_or_b32 v6, v6, s12, 32
	s_mov_b32 s12, 0
	v_mov_b32_e32 v9, v8
	v_readfirstlane_b32 s16, v2
	v_readfirstlane_b32 s17, v3
	s_mov_b32 s13, s12
	v_add_co_u32_e32 v12, vcc, v2, v36
	s_mov_b32 s14, s12
	s_mov_b32 s15, s12
	s_nop 0
	global_store_dwordx4 v36, v[6:9], s[16:17]
	v_addc_co_u32_e32 v13, vcc, 0, v3, vcc
	v_pk_mov_b32 v[6:7], s[12:13], s[12:13] op_sel:[0,1]
	v_pk_mov_b32 v[8:9], s[14:15], s[14:15] op_sel:[0,1]
	global_store_dwordx4 v36, v[6:9], s[16:17] offset:16
	global_store_dwordx4 v36, v[6:9], s[16:17] offset:32
	;; [unrolled: 1-line block ×3, first 2 shown]
	s_and_saveexec_b64 s[12:13], s[4:5]
	s_cbranch_execz .LBB12_130
; %bb.123:
	v_mov_b32_e32 v8, 0
	global_load_dwordx2 v[16:17], v8, s[10:11] offset:32 glc
	global_load_dwordx2 v[2:3], v8, s[10:11] offset:40
	v_mov_b32_e32 v14, s6
	v_mov_b32_e32 v15, s7
	s_waitcnt vmcnt(0)
	v_readfirstlane_b32 s14, v2
	v_readfirstlane_b32 s15, v3
	s_and_b64 s[14:15], s[14:15], s[6:7]
	s_mul_i32 s15, s15, 24
	s_mul_hi_u32 s16, s14, 24
	s_mul_i32 s14, s14, 24
	s_add_i32 s15, s16, s15
	v_mov_b32_e32 v2, s15
	v_add_co_u32_e32 v6, vcc, s14, v0
	v_addc_co_u32_e32 v7, vcc, v1, v2, vcc
	global_store_dwordx2 v[6:7], v[16:17], off
	buffer_wbl2
	s_waitcnt vmcnt(0)
	global_atomic_cmpswap_x2 v[2:3], v8, v[14:17], s[10:11] offset:32 glc
	s_waitcnt vmcnt(0)
	v_cmp_ne_u64_e32 vcc, v[2:3], v[16:17]
	s_and_saveexec_b64 s[14:15], vcc
	s_cbranch_execz .LBB12_126
; %bb.124:
	s_mov_b64 s[16:17], 0
.LBB12_125:                             ; =>This Inner Loop Header: Depth=1
	s_sleep 1
	global_store_dwordx2 v[6:7], v[2:3], off
	v_mov_b32_e32 v0, s6
	v_mov_b32_e32 v1, s7
	buffer_wbl2
	s_waitcnt vmcnt(0)
	global_atomic_cmpswap_x2 v[0:1], v8, v[0:3], s[10:11] offset:32 glc
	s_waitcnt vmcnt(0)
	v_cmp_eq_u64_e32 vcc, v[0:1], v[2:3]
	s_or_b64 s[16:17], vcc, s[16:17]
	v_pk_mov_b32 v[2:3], v[0:1], v[0:1] op_sel:[0,1]
	s_andn2_b64 exec, exec, s[16:17]
	s_cbranch_execnz .LBB12_125
.LBB12_126:
	s_or_b64 exec, exec, s[14:15]
	v_mov_b32_e32 v3, 0
	global_load_dwordx2 v[0:1], v3, s[10:11] offset:16
	s_mov_b64 s[14:15], exec
	v_mbcnt_lo_u32_b32 v2, s14, 0
	v_mbcnt_hi_u32_b32 v2, s15, v2
	v_cmp_eq_u32_e32 vcc, 0, v2
	s_and_saveexec_b64 s[16:17], vcc
	s_cbranch_execz .LBB12_128
; %bb.127:
	s_bcnt1_i32_b64 s14, s[14:15]
	v_mov_b32_e32 v2, s14
	buffer_wbl2
	s_waitcnt vmcnt(0)
	global_atomic_add_x2 v[0:1], v[2:3], off offset:8
.LBB12_128:
	s_or_b64 exec, exec, s[16:17]
	s_waitcnt vmcnt(0)
	global_load_dwordx2 v[2:3], v[0:1], off offset:16
	s_waitcnt vmcnt(0)
	v_cmp_eq_u64_e32 vcc, 0, v[2:3]
	s_cbranch_vccnz .LBB12_130
; %bb.129:
	global_load_dword v0, v[0:1], off offset:24
	v_mov_b32_e32 v1, 0
	buffer_wbl2
	s_waitcnt vmcnt(0)
	global_store_dwordx2 v[2:3], v[0:1], off
	v_and_b32_e32 v0, 0xffffff, v0
	v_readfirstlane_b32 m0, v0
	s_sendmsg sendmsg(MSG_INTERRUPT)
.LBB12_130:
	s_or_b64 exec, exec, s[12:13]
	s_branch .LBB12_134
.LBB12_131:                             ;   in Loop: Header=BB12_134 Depth=1
	s_or_b64 exec, exec, s[12:13]
	v_readfirstlane_b32 s12, v0
	s_cmp_eq_u32 s12, 0
	s_cbranch_scc1 .LBB12_133
; %bb.132:                              ;   in Loop: Header=BB12_134 Depth=1
	s_sleep 1
	s_cbranch_execnz .LBB12_134
	s_branch .LBB12_136
.LBB12_133:
	s_branch .LBB12_136
.LBB12_134:                             ; =>This Inner Loop Header: Depth=1
	v_mov_b32_e32 v0, 1
	s_and_saveexec_b64 s[12:13], s[4:5]
	s_cbranch_execz .LBB12_131
; %bb.135:                              ;   in Loop: Header=BB12_134 Depth=1
	global_load_dword v0, v[10:11], off offset:20 glc
	s_waitcnt vmcnt(0)
	buffer_invl2
	buffer_wbinvl1_vol
	v_and_b32_e32 v0, 1, v0
	s_branch .LBB12_131
.LBB12_136:
	global_load_dwordx2 v[0:1], v[12:13], off
	s_and_saveexec_b64 s[12:13], s[4:5]
	s_cbranch_execz .LBB12_139
; %bb.137:
	v_mov_b32_e32 v10, 0
	global_load_dwordx2 v[2:3], v10, s[10:11] offset:40
	global_load_dwordx2 v[12:13], v10, s[10:11] offset:24 glc
	global_load_dwordx2 v[14:15], v10, s[10:11]
	v_mov_b32_e32 v7, s7
	s_mov_b64 s[4:5], 0
	s_waitcnt vmcnt(2)
	v_add_co_u32_e32 v9, vcc, 1, v2
	v_addc_co_u32_e32 v11, vcc, 0, v3, vcc
	v_add_co_u32_e32 v6, vcc, s6, v9
	v_addc_co_u32_e32 v7, vcc, v11, v7, vcc
	v_cmp_eq_u64_e32 vcc, 0, v[6:7]
	v_cndmask_b32_e32 v7, v7, v11, vcc
	v_cndmask_b32_e32 v6, v6, v9, vcc
	v_and_b32_e32 v3, v7, v3
	v_and_b32_e32 v2, v6, v2
	v_mul_lo_u32 v3, v3, 24
	v_mul_hi_u32 v9, v2, 24
	v_mul_lo_u32 v2, v2, 24
	v_add_u32_e32 v3, v9, v3
	s_waitcnt vmcnt(0)
	v_add_co_u32_e32 v2, vcc, v14, v2
	v_addc_co_u32_e32 v3, vcc, v15, v3, vcc
	v_mov_b32_e32 v8, v12
	global_store_dwordx2 v[2:3], v[12:13], off
	v_mov_b32_e32 v9, v13
	buffer_wbl2
	s_waitcnt vmcnt(0)
	global_atomic_cmpswap_x2 v[8:9], v10, v[6:9], s[10:11] offset:24 glc
	s_waitcnt vmcnt(0)
	v_cmp_ne_u64_e32 vcc, v[8:9], v[12:13]
	s_and_b64 exec, exec, vcc
	s_cbranch_execz .LBB12_139
.LBB12_138:                             ; =>This Inner Loop Header: Depth=1
	s_sleep 1
	global_store_dwordx2 v[2:3], v[8:9], off
	buffer_wbl2
	s_waitcnt vmcnt(0)
	global_atomic_cmpswap_x2 v[12:13], v10, v[6:9], s[10:11] offset:24 glc
	s_waitcnt vmcnt(0)
	v_cmp_eq_u64_e32 vcc, v[12:13], v[8:9]
	s_or_b64 s[4:5], vcc, s[4:5]
	v_pk_mov_b32 v[8:9], v[12:13], v[12:13] op_sel:[0,1]
	s_andn2_b64 exec, exec, s[4:5]
	s_cbranch_execnz .LBB12_138
.LBB12_139:
	s_or_b64 exec, exec, s[12:13]
.LBB12_140:
	s_getpc_b64 s[6:7]
	s_add_u32 s6, s6, .str.4@rel32@lo+4
	s_addc_u32 s7, s7, .str.4@rel32@hi+12
	s_cmp_lg_u64 s[6:7], 0
	s_cbranch_scc0 .LBB12_224
; %bb.141:
	s_getpc_b64 s[4:5]
	s_add_u32 s4, s4, .str.4@rel32@lo+95
	s_addc_u32 s5, s5, .str.4@rel32@hi+103
	s_sub_i32 s12, s4, s6
	s_ashr_i32 s13, s12, 31
	s_waitcnt vmcnt(0)
	v_and_b32_e32 v2, 2, v0
	v_mov_b32_e32 v33, 0
	v_and_b32_e32 v6, -3, v0
	v_mov_b32_e32 v7, v1
	v_mov_b32_e32 v10, 2
	;; [unrolled: 1-line block ×3, first 2 shown]
	s_branch .LBB12_143
.LBB12_142:                             ;   in Loop: Header=BB12_143 Depth=1
	s_or_b64 exec, exec, s[18:19]
	s_sub_u32 s12, s12, s14
	s_subb_u32 s13, s13, s15
	s_add_u32 s6, s6, s14
	s_addc_u32 s7, s7, s15
	s_cmp_lg_u64 s[12:13], 0
	s_cbranch_scc0 .LBB12_225
.LBB12_143:                             ; =>This Loop Header: Depth=1
                                        ;     Child Loop BB12_146 Depth 2
                                        ;     Child Loop BB12_153 Depth 2
                                        ;     Child Loop BB12_161 Depth 2
                                        ;     Child Loop BB12_169 Depth 2
                                        ;     Child Loop BB12_177 Depth 2
                                        ;     Child Loop BB12_185 Depth 2
                                        ;     Child Loop BB12_193 Depth 2
                                        ;     Child Loop BB12_201 Depth 2
                                        ;     Child Loop BB12_209 Depth 2
                                        ;     Child Loop BB12_218 Depth 2
                                        ;     Child Loop BB12_223 Depth 2
	v_cmp_lt_u64_e64 s[4:5], s[12:13], 56
	s_and_b64 s[4:5], s[4:5], exec
	v_cmp_gt_u64_e64 s[4:5], s[12:13], 7
	s_cselect_b32 s15, s13, 0
	s_cselect_b32 s14, s12, 56
	s_and_b64 vcc, exec, s[4:5]
	s_cbranch_vccnz .LBB12_148
; %bb.144:                              ;   in Loop: Header=BB12_143 Depth=1
	s_mov_b64 s[4:5], 0
	s_cmp_eq_u64 s[12:13], 0
	v_pk_mov_b32 v[14:15], 0, 0
	s_cbranch_scc1 .LBB12_147
; %bb.145:                              ;   in Loop: Header=BB12_143 Depth=1
	s_lshl_b64 s[16:17], s[14:15], 3
	s_mov_b64 s[18:19], 0
	v_pk_mov_b32 v[14:15], 0, 0
	s_mov_b64 s[20:21], s[6:7]
.LBB12_146:                             ;   Parent Loop BB12_143 Depth=1
                                        ; =>  This Inner Loop Header: Depth=2
	global_load_ubyte v3, v33, s[20:21]
	s_waitcnt vmcnt(0)
	v_and_b32_e32 v32, 0xffff, v3
	v_lshlrev_b64 v[8:9], s18, v[32:33]
	s_add_u32 s18, s18, 8
	s_addc_u32 s19, s19, 0
	s_add_u32 s20, s20, 1
	s_addc_u32 s21, s21, 0
	v_or_b32_e32 v14, v8, v14
	s_cmp_lg_u32 s16, s18
	v_or_b32_e32 v15, v9, v15
	s_cbranch_scc1 .LBB12_146
.LBB12_147:                             ;   in Loop: Header=BB12_143 Depth=1
	s_mov_b32 s20, 0
	s_andn2_b64 vcc, exec, s[4:5]
	s_mov_b64 s[4:5], s[6:7]
	s_cbranch_vccz .LBB12_149
	s_branch .LBB12_150
.LBB12_148:                             ;   in Loop: Header=BB12_143 Depth=1
                                        ; implicit-def: $vgpr14_vgpr15
                                        ; implicit-def: $sgpr20
	s_mov_b64 s[4:5], s[6:7]
.LBB12_149:                             ;   in Loop: Header=BB12_143 Depth=1
	global_load_dwordx2 v[14:15], v33, s[6:7]
	s_add_i32 s20, s14, -8
	s_add_u32 s4, s6, 8
	s_addc_u32 s5, s7, 0
.LBB12_150:                             ;   in Loop: Header=BB12_143 Depth=1
	s_cmp_gt_u32 s20, 7
	s_cbranch_scc1 .LBB12_154
; %bb.151:                              ;   in Loop: Header=BB12_143 Depth=1
	s_cmp_eq_u32 s20, 0
	s_cbranch_scc1 .LBB12_155
; %bb.152:                              ;   in Loop: Header=BB12_143 Depth=1
	s_mov_b64 s[16:17], 0
	v_pk_mov_b32 v[16:17], 0, 0
	s_mov_b64 s[18:19], 0
.LBB12_153:                             ;   Parent Loop BB12_143 Depth=1
                                        ; =>  This Inner Loop Header: Depth=2
	s_add_u32 s22, s4, s18
	s_addc_u32 s23, s5, s19
	global_load_ubyte v3, v33, s[22:23]
	s_add_u32 s18, s18, 1
	s_addc_u32 s19, s19, 0
	s_waitcnt vmcnt(0)
	v_and_b32_e32 v32, 0xffff, v3
	v_lshlrev_b64 v[8:9], s16, v[32:33]
	s_add_u32 s16, s16, 8
	s_addc_u32 s17, s17, 0
	v_or_b32_e32 v16, v8, v16
	s_cmp_lg_u32 s20, s18
	v_or_b32_e32 v17, v9, v17
	s_cbranch_scc1 .LBB12_153
	s_branch .LBB12_156
.LBB12_154:                             ;   in Loop: Header=BB12_143 Depth=1
                                        ; implicit-def: $vgpr16_vgpr17
                                        ; implicit-def: $sgpr21
	s_branch .LBB12_157
.LBB12_155:                             ;   in Loop: Header=BB12_143 Depth=1
	v_pk_mov_b32 v[16:17], 0, 0
.LBB12_156:                             ;   in Loop: Header=BB12_143 Depth=1
	s_mov_b32 s21, 0
	s_cbranch_execnz .LBB12_158
.LBB12_157:                             ;   in Loop: Header=BB12_143 Depth=1
	global_load_dwordx2 v[16:17], v33, s[4:5]
	s_add_i32 s21, s20, -8
	s_add_u32 s4, s4, 8
	s_addc_u32 s5, s5, 0
.LBB12_158:                             ;   in Loop: Header=BB12_143 Depth=1
	s_cmp_gt_u32 s21, 7
	s_cbranch_scc1 .LBB12_162
; %bb.159:                              ;   in Loop: Header=BB12_143 Depth=1
	s_cmp_eq_u32 s21, 0
	s_cbranch_scc1 .LBB12_163
; %bb.160:                              ;   in Loop: Header=BB12_143 Depth=1
	s_mov_b64 s[16:17], 0
	v_pk_mov_b32 v[18:19], 0, 0
	s_mov_b64 s[18:19], 0
.LBB12_161:                             ;   Parent Loop BB12_143 Depth=1
                                        ; =>  This Inner Loop Header: Depth=2
	s_add_u32 s22, s4, s18
	s_addc_u32 s23, s5, s19
	global_load_ubyte v3, v33, s[22:23]
	s_add_u32 s18, s18, 1
	s_addc_u32 s19, s19, 0
	s_waitcnt vmcnt(0)
	v_and_b32_e32 v32, 0xffff, v3
	v_lshlrev_b64 v[8:9], s16, v[32:33]
	s_add_u32 s16, s16, 8
	s_addc_u32 s17, s17, 0
	v_or_b32_e32 v18, v8, v18
	s_cmp_lg_u32 s21, s18
	v_or_b32_e32 v19, v9, v19
	s_cbranch_scc1 .LBB12_161
	s_branch .LBB12_164
.LBB12_162:                             ;   in Loop: Header=BB12_143 Depth=1
                                        ; implicit-def: $sgpr20
	s_branch .LBB12_165
.LBB12_163:                             ;   in Loop: Header=BB12_143 Depth=1
	v_pk_mov_b32 v[18:19], 0, 0
.LBB12_164:                             ;   in Loop: Header=BB12_143 Depth=1
	s_mov_b32 s20, 0
	s_cbranch_execnz .LBB12_166
.LBB12_165:                             ;   in Loop: Header=BB12_143 Depth=1
	global_load_dwordx2 v[18:19], v33, s[4:5]
	s_add_i32 s20, s21, -8
	s_add_u32 s4, s4, 8
	s_addc_u32 s5, s5, 0
.LBB12_166:                             ;   in Loop: Header=BB12_143 Depth=1
	s_cmp_gt_u32 s20, 7
	s_cbranch_scc1 .LBB12_170
; %bb.167:                              ;   in Loop: Header=BB12_143 Depth=1
	s_cmp_eq_u32 s20, 0
	s_cbranch_scc1 .LBB12_171
; %bb.168:                              ;   in Loop: Header=BB12_143 Depth=1
	s_mov_b64 s[16:17], 0
	v_pk_mov_b32 v[20:21], 0, 0
	s_mov_b64 s[18:19], 0
.LBB12_169:                             ;   Parent Loop BB12_143 Depth=1
                                        ; =>  This Inner Loop Header: Depth=2
	s_add_u32 s22, s4, s18
	s_addc_u32 s23, s5, s19
	global_load_ubyte v3, v33, s[22:23]
	s_add_u32 s18, s18, 1
	s_addc_u32 s19, s19, 0
	s_waitcnt vmcnt(0)
	v_and_b32_e32 v32, 0xffff, v3
	v_lshlrev_b64 v[8:9], s16, v[32:33]
	s_add_u32 s16, s16, 8
	s_addc_u32 s17, s17, 0
	v_or_b32_e32 v20, v8, v20
	s_cmp_lg_u32 s20, s18
	v_or_b32_e32 v21, v9, v21
	s_cbranch_scc1 .LBB12_169
	s_branch .LBB12_172
.LBB12_170:                             ;   in Loop: Header=BB12_143 Depth=1
                                        ; implicit-def: $vgpr20_vgpr21
                                        ; implicit-def: $sgpr21
	s_branch .LBB12_173
.LBB12_171:                             ;   in Loop: Header=BB12_143 Depth=1
	v_pk_mov_b32 v[20:21], 0, 0
.LBB12_172:                             ;   in Loop: Header=BB12_143 Depth=1
	s_mov_b32 s21, 0
	s_cbranch_execnz .LBB12_174
.LBB12_173:                             ;   in Loop: Header=BB12_143 Depth=1
	global_load_dwordx2 v[20:21], v33, s[4:5]
	s_add_i32 s21, s20, -8
	s_add_u32 s4, s4, 8
	s_addc_u32 s5, s5, 0
.LBB12_174:                             ;   in Loop: Header=BB12_143 Depth=1
	s_cmp_gt_u32 s21, 7
	s_cbranch_scc1 .LBB12_178
; %bb.175:                              ;   in Loop: Header=BB12_143 Depth=1
	s_cmp_eq_u32 s21, 0
	s_cbranch_scc1 .LBB12_179
; %bb.176:                              ;   in Loop: Header=BB12_143 Depth=1
	s_mov_b64 s[16:17], 0
	v_pk_mov_b32 v[22:23], 0, 0
	s_mov_b64 s[18:19], 0
.LBB12_177:                             ;   Parent Loop BB12_143 Depth=1
                                        ; =>  This Inner Loop Header: Depth=2
	s_add_u32 s22, s4, s18
	s_addc_u32 s23, s5, s19
	global_load_ubyte v3, v33, s[22:23]
	s_add_u32 s18, s18, 1
	s_addc_u32 s19, s19, 0
	s_waitcnt vmcnt(0)
	v_and_b32_e32 v32, 0xffff, v3
	v_lshlrev_b64 v[8:9], s16, v[32:33]
	s_add_u32 s16, s16, 8
	s_addc_u32 s17, s17, 0
	v_or_b32_e32 v22, v8, v22
	s_cmp_lg_u32 s21, s18
	v_or_b32_e32 v23, v9, v23
	s_cbranch_scc1 .LBB12_177
	s_branch .LBB12_180
.LBB12_178:                             ;   in Loop: Header=BB12_143 Depth=1
                                        ; implicit-def: $sgpr20
	s_branch .LBB12_181
.LBB12_179:                             ;   in Loop: Header=BB12_143 Depth=1
	v_pk_mov_b32 v[22:23], 0, 0
.LBB12_180:                             ;   in Loop: Header=BB12_143 Depth=1
	s_mov_b32 s20, 0
	s_cbranch_execnz .LBB12_182
.LBB12_181:                             ;   in Loop: Header=BB12_143 Depth=1
	global_load_dwordx2 v[22:23], v33, s[4:5]
	s_add_i32 s20, s21, -8
	s_add_u32 s4, s4, 8
	s_addc_u32 s5, s5, 0
.LBB12_182:                             ;   in Loop: Header=BB12_143 Depth=1
	s_cmp_gt_u32 s20, 7
	s_cbranch_scc1 .LBB12_186
; %bb.183:                              ;   in Loop: Header=BB12_143 Depth=1
	s_cmp_eq_u32 s20, 0
	s_cbranch_scc1 .LBB12_187
; %bb.184:                              ;   in Loop: Header=BB12_143 Depth=1
	s_mov_b64 s[16:17], 0
	v_pk_mov_b32 v[24:25], 0, 0
	s_mov_b64 s[18:19], 0
.LBB12_185:                             ;   Parent Loop BB12_143 Depth=1
                                        ; =>  This Inner Loop Header: Depth=2
	s_add_u32 s22, s4, s18
	s_addc_u32 s23, s5, s19
	global_load_ubyte v3, v33, s[22:23]
	s_add_u32 s18, s18, 1
	s_addc_u32 s19, s19, 0
	s_waitcnt vmcnt(0)
	v_and_b32_e32 v32, 0xffff, v3
	v_lshlrev_b64 v[8:9], s16, v[32:33]
	s_add_u32 s16, s16, 8
	s_addc_u32 s17, s17, 0
	v_or_b32_e32 v24, v8, v24
	s_cmp_lg_u32 s20, s18
	v_or_b32_e32 v25, v9, v25
	s_cbranch_scc1 .LBB12_185
	s_branch .LBB12_188
.LBB12_186:                             ;   in Loop: Header=BB12_143 Depth=1
                                        ; implicit-def: $vgpr24_vgpr25
                                        ; implicit-def: $sgpr21
	s_branch .LBB12_189
.LBB12_187:                             ;   in Loop: Header=BB12_143 Depth=1
	v_pk_mov_b32 v[24:25], 0, 0
.LBB12_188:                             ;   in Loop: Header=BB12_143 Depth=1
	s_mov_b32 s21, 0
	s_cbranch_execnz .LBB12_190
.LBB12_189:                             ;   in Loop: Header=BB12_143 Depth=1
	global_load_dwordx2 v[24:25], v33, s[4:5]
	s_add_i32 s21, s20, -8
	s_add_u32 s4, s4, 8
	s_addc_u32 s5, s5, 0
.LBB12_190:                             ;   in Loop: Header=BB12_143 Depth=1
	s_cmp_gt_u32 s21, 7
	s_cbranch_scc1 .LBB12_194
; %bb.191:                              ;   in Loop: Header=BB12_143 Depth=1
	s_cmp_eq_u32 s21, 0
	s_cbranch_scc1 .LBB12_195
; %bb.192:                              ;   in Loop: Header=BB12_143 Depth=1
	s_mov_b64 s[16:17], 0
	v_pk_mov_b32 v[26:27], 0, 0
	s_mov_b64 s[18:19], s[4:5]
.LBB12_193:                             ;   Parent Loop BB12_143 Depth=1
                                        ; =>  This Inner Loop Header: Depth=2
	global_load_ubyte v3, v33, s[18:19]
	s_add_i32 s21, s21, -1
	s_waitcnt vmcnt(0)
	v_and_b32_e32 v32, 0xffff, v3
	v_lshlrev_b64 v[8:9], s16, v[32:33]
	s_add_u32 s16, s16, 8
	s_addc_u32 s17, s17, 0
	s_add_u32 s18, s18, 1
	s_addc_u32 s19, s19, 0
	v_or_b32_e32 v26, v8, v26
	s_cmp_lg_u32 s21, 0
	v_or_b32_e32 v27, v9, v27
	s_cbranch_scc1 .LBB12_193
	s_branch .LBB12_196
.LBB12_194:                             ;   in Loop: Header=BB12_143 Depth=1
	s_branch .LBB12_197
.LBB12_195:                             ;   in Loop: Header=BB12_143 Depth=1
	v_pk_mov_b32 v[26:27], 0, 0
.LBB12_196:                             ;   in Loop: Header=BB12_143 Depth=1
	s_cbranch_execnz .LBB12_198
.LBB12_197:                             ;   in Loop: Header=BB12_143 Depth=1
	global_load_dwordx2 v[26:27], v33, s[4:5]
.LBB12_198:                             ;   in Loop: Header=BB12_143 Depth=1
	v_readfirstlane_b32 s4, v37
	v_cmp_eq_u32_e64 s[4:5], s4, v37
	s_waitcnt vmcnt(0)
	v_pk_mov_b32 v[8:9], 0, 0
	s_and_saveexec_b64 s[16:17], s[4:5]
	s_cbranch_execz .LBB12_204
; %bb.199:                              ;   in Loop: Header=BB12_143 Depth=1
	global_load_dwordx2 v[30:31], v33, s[10:11] offset:24 glc
	s_waitcnt vmcnt(0)
	buffer_invl2
	buffer_wbinvl1_vol
	global_load_dwordx2 v[8:9], v33, s[10:11] offset:40
	global_load_dwordx2 v[12:13], v33, s[10:11]
	s_waitcnt vmcnt(1)
	v_and_b32_e32 v3, v8, v30
	v_and_b32_e32 v8, v9, v31
	v_mul_lo_u32 v8, v8, 24
	v_mul_hi_u32 v9, v3, 24
	v_mul_lo_u32 v3, v3, 24
	v_add_u32_e32 v9, v9, v8
	s_waitcnt vmcnt(0)
	v_add_co_u32_e32 v8, vcc, v12, v3
	v_addc_co_u32_e32 v9, vcc, v13, v9, vcc
	global_load_dwordx2 v[28:29], v[8:9], off glc
	s_waitcnt vmcnt(0)
	global_atomic_cmpswap_x2 v[8:9], v33, v[28:31], s[10:11] offset:24 glc
	s_waitcnt vmcnt(0)
	buffer_invl2
	buffer_wbinvl1_vol
	v_cmp_ne_u64_e32 vcc, v[8:9], v[30:31]
	s_and_saveexec_b64 s[18:19], vcc
	s_cbranch_execz .LBB12_203
; %bb.200:                              ;   in Loop: Header=BB12_143 Depth=1
	s_mov_b64 s[20:21], 0
.LBB12_201:                             ;   Parent Loop BB12_143 Depth=1
                                        ; =>  This Inner Loop Header: Depth=2
	s_sleep 1
	global_load_dwordx2 v[12:13], v33, s[10:11] offset:40
	global_load_dwordx2 v[28:29], v33, s[10:11]
	v_pk_mov_b32 v[30:31], v[8:9], v[8:9] op_sel:[0,1]
	s_waitcnt vmcnt(1)
	v_and_b32_e32 v8, v12, v30
	s_waitcnt vmcnt(0)
	v_mad_u64_u32 v[8:9], s[22:23], v8, 24, v[28:29]
	v_and_b32_e32 v3, v13, v31
	v_mov_b32_e32 v12, v9
	v_mad_u64_u32 v[12:13], s[22:23], v3, 24, v[12:13]
	v_mov_b32_e32 v9, v12
	global_load_dwordx2 v[28:29], v[8:9], off glc
	s_waitcnt vmcnt(0)
	global_atomic_cmpswap_x2 v[8:9], v33, v[28:31], s[10:11] offset:24 glc
	s_waitcnt vmcnt(0)
	buffer_invl2
	buffer_wbinvl1_vol
	v_cmp_eq_u64_e32 vcc, v[8:9], v[30:31]
	s_or_b64 s[20:21], vcc, s[20:21]
	s_andn2_b64 exec, exec, s[20:21]
	s_cbranch_execnz .LBB12_201
; %bb.202:                              ;   in Loop: Header=BB12_143 Depth=1
	s_or_b64 exec, exec, s[20:21]
.LBB12_203:                             ;   in Loop: Header=BB12_143 Depth=1
	s_or_b64 exec, exec, s[18:19]
.LBB12_204:                             ;   in Loop: Header=BB12_143 Depth=1
	s_or_b64 exec, exec, s[16:17]
	global_load_dwordx2 v[12:13], v33, s[10:11] offset:40
	global_load_dwordx4 v[28:31], v33, s[10:11]
	v_readfirstlane_b32 s16, v8
	v_readfirstlane_b32 s17, v9
	s_mov_b64 s[18:19], exec
	s_waitcnt vmcnt(1)
	v_readfirstlane_b32 s20, v12
	v_readfirstlane_b32 s21, v13
	s_and_b64 s[20:21], s[16:17], s[20:21]
	s_mul_i32 s22, s21, 24
	s_mul_hi_u32 s23, s20, 24
	s_mul_i32 s24, s20, 24
	s_add_i32 s22, s23, s22
	v_mov_b32_e32 v3, s22
	s_waitcnt vmcnt(0)
	v_add_co_u32_e32 v34, vcc, s24, v28
	v_addc_co_u32_e32 v35, vcc, v29, v3, vcc
	s_and_saveexec_b64 s[22:23], s[4:5]
	s_cbranch_execz .LBB12_206
; %bb.205:                              ;   in Loop: Header=BB12_143 Depth=1
	v_pk_mov_b32 v[8:9], s[18:19], s[18:19] op_sel:[0,1]
	global_store_dwordx4 v[34:35], v[8:11], off offset:8
.LBB12_206:                             ;   in Loop: Header=BB12_143 Depth=1
	s_or_b64 exec, exec, s[22:23]
	s_lshl_b64 s[18:19], s[20:21], 12
	v_mov_b32_e32 v3, s19
	v_add_co_u32_e32 v30, vcc, s18, v30
	v_addc_co_u32_e32 v3, vcc, v31, v3, vcc
	v_or_b32_e32 v9, v6, v2
	v_cmp_gt_u64_e64 vcc, s[12:13], 56
	s_lshl_b32 s18, s14, 2
	v_cndmask_b32_e32 v6, v9, v6, vcc
	s_add_i32 s18, s18, 28
	v_or_b32_e32 v8, 0, v7
	s_and_b32 s18, s18, 0x1e0
	v_and_b32_e32 v6, 0xffffff1f, v6
	v_cndmask_b32_e32 v13, v8, v7, vcc
	v_or_b32_e32 v12, s18, v6
	v_readfirstlane_b32 s18, v30
	v_readfirstlane_b32 s19, v3
	s_nop 4
	global_store_dwordx4 v36, v[12:15], s[18:19]
	global_store_dwordx4 v36, v[16:19], s[18:19] offset:16
	global_store_dwordx4 v36, v[20:23], s[18:19] offset:32
	;; [unrolled: 1-line block ×3, first 2 shown]
	s_and_saveexec_b64 s[18:19], s[4:5]
	s_cbranch_execz .LBB12_214
; %bb.207:                              ;   in Loop: Header=BB12_143 Depth=1
	global_load_dwordx2 v[16:17], v33, s[10:11] offset:32 glc
	global_load_dwordx2 v[6:7], v33, s[10:11] offset:40
	v_mov_b32_e32 v14, s16
	v_mov_b32_e32 v15, s17
	s_waitcnt vmcnt(0)
	v_readfirstlane_b32 s20, v6
	v_readfirstlane_b32 s21, v7
	s_and_b64 s[20:21], s[20:21], s[16:17]
	s_mul_i32 s21, s21, 24
	s_mul_hi_u32 s22, s20, 24
	s_mul_i32 s20, s20, 24
	s_add_i32 s21, s22, s21
	v_mov_b32_e32 v6, s21
	v_add_co_u32_e32 v12, vcc, s20, v28
	v_addc_co_u32_e32 v13, vcc, v29, v6, vcc
	global_store_dwordx2 v[12:13], v[16:17], off
	buffer_wbl2
	s_waitcnt vmcnt(0)
	global_atomic_cmpswap_x2 v[8:9], v33, v[14:17], s[10:11] offset:32 glc
	s_waitcnt vmcnt(0)
	v_cmp_ne_u64_e32 vcc, v[8:9], v[16:17]
	s_and_saveexec_b64 s[20:21], vcc
	s_cbranch_execz .LBB12_210
; %bb.208:                              ;   in Loop: Header=BB12_143 Depth=1
	s_mov_b64 s[22:23], 0
.LBB12_209:                             ;   Parent Loop BB12_143 Depth=1
                                        ; =>  This Inner Loop Header: Depth=2
	s_sleep 1
	global_store_dwordx2 v[12:13], v[8:9], off
	v_mov_b32_e32 v6, s16
	v_mov_b32_e32 v7, s17
	buffer_wbl2
	s_waitcnt vmcnt(0)
	global_atomic_cmpswap_x2 v[6:7], v33, v[6:9], s[10:11] offset:32 glc
	s_waitcnt vmcnt(0)
	v_cmp_eq_u64_e32 vcc, v[6:7], v[8:9]
	s_or_b64 s[22:23], vcc, s[22:23]
	v_pk_mov_b32 v[8:9], v[6:7], v[6:7] op_sel:[0,1]
	s_andn2_b64 exec, exec, s[22:23]
	s_cbranch_execnz .LBB12_209
.LBB12_210:                             ;   in Loop: Header=BB12_143 Depth=1
	s_or_b64 exec, exec, s[20:21]
	global_load_dwordx2 v[6:7], v33, s[10:11] offset:16
	s_mov_b64 s[22:23], exec
	v_mbcnt_lo_u32_b32 v8, s22, 0
	v_mbcnt_hi_u32_b32 v8, s23, v8
	v_cmp_eq_u32_e32 vcc, 0, v8
	s_and_saveexec_b64 s[20:21], vcc
	s_cbranch_execz .LBB12_212
; %bb.211:                              ;   in Loop: Header=BB12_143 Depth=1
	s_bcnt1_i32_b64 s22, s[22:23]
	v_mov_b32_e32 v32, s22
	buffer_wbl2
	s_waitcnt vmcnt(0)
	global_atomic_add_x2 v[6:7], v[32:33], off offset:8
.LBB12_212:                             ;   in Loop: Header=BB12_143 Depth=1
	s_or_b64 exec, exec, s[20:21]
	s_waitcnt vmcnt(0)
	global_load_dwordx2 v[8:9], v[6:7], off offset:16
	s_waitcnt vmcnt(0)
	v_cmp_eq_u64_e32 vcc, 0, v[8:9]
	s_cbranch_vccnz .LBB12_214
; %bb.213:                              ;   in Loop: Header=BB12_143 Depth=1
	global_load_dword v32, v[6:7], off offset:24
	s_waitcnt vmcnt(0)
	v_and_b32_e32 v6, 0xffffff, v32
	v_readfirstlane_b32 m0, v6
	buffer_wbl2
	global_store_dwordx2 v[8:9], v[32:33], off
	s_sendmsg sendmsg(MSG_INTERRUPT)
.LBB12_214:                             ;   in Loop: Header=BB12_143 Depth=1
	s_or_b64 exec, exec, s[18:19]
	v_add_co_u32_e32 v6, vcc, v30, v36
	v_addc_co_u32_e32 v7, vcc, 0, v3, vcc
	s_branch .LBB12_218
.LBB12_215:                             ;   in Loop: Header=BB12_218 Depth=2
	s_or_b64 exec, exec, s[18:19]
	v_readfirstlane_b32 s18, v3
	s_cmp_eq_u32 s18, 0
	s_cbranch_scc1 .LBB12_217
; %bb.216:                              ;   in Loop: Header=BB12_218 Depth=2
	s_sleep 1
	s_cbranch_execnz .LBB12_218
	s_branch .LBB12_220
.LBB12_217:                             ;   in Loop: Header=BB12_143 Depth=1
	s_branch .LBB12_220
.LBB12_218:                             ;   Parent Loop BB12_143 Depth=1
                                        ; =>  This Inner Loop Header: Depth=2
	v_mov_b32_e32 v3, 1
	s_and_saveexec_b64 s[18:19], s[4:5]
	s_cbranch_execz .LBB12_215
; %bb.219:                              ;   in Loop: Header=BB12_218 Depth=2
	global_load_dword v3, v[34:35], off offset:20 glc
	s_waitcnt vmcnt(0)
	buffer_invl2
	buffer_wbinvl1_vol
	v_and_b32_e32 v3, 1, v3
	s_branch .LBB12_215
.LBB12_220:                             ;   in Loop: Header=BB12_143 Depth=1
	global_load_dwordx4 v[6:9], v[6:7], off
	s_and_saveexec_b64 s[18:19], s[4:5]
	s_cbranch_execz .LBB12_142
; %bb.221:                              ;   in Loop: Header=BB12_143 Depth=1
	global_load_dwordx2 v[8:9], v33, s[10:11] offset:40
	global_load_dwordx2 v[16:17], v33, s[10:11] offset:24 glc
	global_load_dwordx2 v[18:19], v33, s[10:11]
	v_mov_b32_e32 v3, s17
	s_waitcnt vmcnt(2)
	v_add_co_u32_e32 v15, vcc, 1, v8
	v_addc_co_u32_e32 v20, vcc, 0, v9, vcc
	v_add_co_u32_e32 v12, vcc, s16, v15
	v_addc_co_u32_e32 v13, vcc, v20, v3, vcc
	v_cmp_eq_u64_e32 vcc, 0, v[12:13]
	v_cndmask_b32_e32 v13, v13, v20, vcc
	v_cndmask_b32_e32 v12, v12, v15, vcc
	v_and_b32_e32 v3, v13, v9
	v_and_b32_e32 v8, v12, v8
	v_mul_lo_u32 v3, v3, 24
	v_mul_hi_u32 v9, v8, 24
	v_mul_lo_u32 v8, v8, 24
	v_add_u32_e32 v3, v9, v3
	s_waitcnt vmcnt(0)
	v_add_co_u32_e32 v8, vcc, v18, v8
	v_addc_co_u32_e32 v9, vcc, v19, v3, vcc
	v_mov_b32_e32 v14, v16
	global_store_dwordx2 v[8:9], v[16:17], off
	v_mov_b32_e32 v15, v17
	buffer_wbl2
	s_waitcnt vmcnt(0)
	global_atomic_cmpswap_x2 v[14:15], v33, v[12:15], s[10:11] offset:24 glc
	s_waitcnt vmcnt(0)
	v_cmp_ne_u64_e32 vcc, v[14:15], v[16:17]
	s_and_b64 exec, exec, vcc
	s_cbranch_execz .LBB12_142
; %bb.222:                              ;   in Loop: Header=BB12_143 Depth=1
	s_mov_b64 s[4:5], 0
.LBB12_223:                             ;   Parent Loop BB12_143 Depth=1
                                        ; =>  This Inner Loop Header: Depth=2
	s_sleep 1
	global_store_dwordx2 v[8:9], v[14:15], off
	buffer_wbl2
	s_waitcnt vmcnt(0)
	global_atomic_cmpswap_x2 v[16:17], v33, v[12:15], s[10:11] offset:24 glc
	s_waitcnt vmcnt(0)
	v_cmp_eq_u64_e32 vcc, v[16:17], v[14:15]
	s_or_b64 s[4:5], vcc, s[4:5]
	v_pk_mov_b32 v[14:15], v[16:17], v[16:17] op_sel:[0,1]
	s_andn2_b64 exec, exec, s[4:5]
	s_cbranch_execnz .LBB12_223
	s_branch .LBB12_142
.LBB12_224:
                                        ; implicit-def: $vgpr6_vgpr7
	s_cbranch_execnz .LBB12_226
	s_branch .LBB12_252
.LBB12_225:
	s_branch .LBB12_252
.LBB12_226:
	v_readfirstlane_b32 s4, v37
	v_cmp_eq_u32_e64 s[4:5], s4, v37
	v_pk_mov_b32 v[10:11], 0, 0
	s_and_saveexec_b64 s[6:7], s[4:5]
	s_cbranch_execz .LBB12_232
; %bb.227:
	s_waitcnt vmcnt(0)
	v_mov_b32_e32 v2, 0
	global_load_dwordx2 v[8:9], v2, s[10:11] offset:24 glc
	s_waitcnt vmcnt(0)
	buffer_invl2
	buffer_wbinvl1_vol
	global_load_dwordx2 v[6:7], v2, s[10:11] offset:40
	global_load_dwordx2 v[10:11], v2, s[10:11]
	s_waitcnt vmcnt(1)
	v_and_b32_e32 v3, v6, v8
	v_and_b32_e32 v6, v7, v9
	v_mul_lo_u32 v6, v6, 24
	v_mul_hi_u32 v7, v3, 24
	v_mul_lo_u32 v3, v3, 24
	v_add_u32_e32 v7, v7, v6
	s_waitcnt vmcnt(0)
	v_add_co_u32_e32 v6, vcc, v10, v3
	v_addc_co_u32_e32 v7, vcc, v11, v7, vcc
	global_load_dwordx2 v[6:7], v[6:7], off glc
	s_waitcnt vmcnt(0)
	global_atomic_cmpswap_x2 v[10:11], v2, v[6:9], s[10:11] offset:24 glc
	s_waitcnt vmcnt(0)
	buffer_invl2
	buffer_wbinvl1_vol
	v_cmp_ne_u64_e32 vcc, v[10:11], v[8:9]
	s_and_saveexec_b64 s[12:13], vcc
	s_cbranch_execz .LBB12_231
; %bb.228:
	s_mov_b64 s[14:15], 0
.LBB12_229:                             ; =>This Inner Loop Header: Depth=1
	s_sleep 1
	global_load_dwordx2 v[6:7], v2, s[10:11] offset:40
	global_load_dwordx2 v[12:13], v2, s[10:11]
	v_pk_mov_b32 v[8:9], v[10:11], v[10:11] op_sel:[0,1]
	s_waitcnt vmcnt(1)
	v_and_b32_e32 v6, v6, v8
	v_and_b32_e32 v3, v7, v9
	s_waitcnt vmcnt(0)
	v_mad_u64_u32 v[6:7], s[16:17], v6, 24, v[12:13]
	v_mov_b32_e32 v10, v7
	v_mad_u64_u32 v[10:11], s[16:17], v3, 24, v[10:11]
	v_mov_b32_e32 v7, v10
	global_load_dwordx2 v[6:7], v[6:7], off glc
	s_waitcnt vmcnt(0)
	global_atomic_cmpswap_x2 v[10:11], v2, v[6:9], s[10:11] offset:24 glc
	s_waitcnt vmcnt(0)
	buffer_invl2
	buffer_wbinvl1_vol
	v_cmp_eq_u64_e32 vcc, v[10:11], v[8:9]
	s_or_b64 s[14:15], vcc, s[14:15]
	s_andn2_b64 exec, exec, s[14:15]
	s_cbranch_execnz .LBB12_229
; %bb.230:
	s_or_b64 exec, exec, s[14:15]
.LBB12_231:
	s_or_b64 exec, exec, s[12:13]
.LBB12_232:
	s_or_b64 exec, exec, s[6:7]
	s_waitcnt vmcnt(0)
	v_mov_b32_e32 v2, 0
	global_load_dwordx2 v[12:13], v2, s[10:11] offset:40
	global_load_dwordx4 v[6:9], v2, s[10:11]
	v_readfirstlane_b32 s6, v10
	v_readfirstlane_b32 s7, v11
	s_mov_b64 s[12:13], exec
	s_waitcnt vmcnt(1)
	v_readfirstlane_b32 s14, v12
	v_readfirstlane_b32 s15, v13
	s_and_b64 s[14:15], s[6:7], s[14:15]
	s_mul_i32 s16, s15, 24
	s_mul_hi_u32 s17, s14, 24
	s_mul_i32 s18, s14, 24
	s_add_i32 s16, s17, s16
	v_mov_b32_e32 v3, s16
	s_waitcnt vmcnt(0)
	v_add_co_u32_e32 v10, vcc, s18, v6
	v_addc_co_u32_e32 v11, vcc, v7, v3, vcc
	s_and_saveexec_b64 s[16:17], s[4:5]
	s_cbranch_execz .LBB12_234
; %bb.233:
	v_pk_mov_b32 v[12:13], s[12:13], s[12:13] op_sel:[0,1]
	v_mov_b32_e32 v14, 2
	v_mov_b32_e32 v15, 1
	global_store_dwordx4 v[10:11], v[12:15], off offset:8
.LBB12_234:
	s_or_b64 exec, exec, s[16:17]
	s_lshl_b64 s[12:13], s[14:15], 12
	v_mov_b32_e32 v3, s13
	v_add_co_u32_e32 v12, vcc, s12, v8
	s_movk_i32 s12, 0xff1f
	v_addc_co_u32_e32 v13, vcc, v9, v3, vcc
	v_and_or_b32 v0, v0, s12, 32
	s_mov_b32 s12, 0
	v_mov_b32_e32 v3, v2
	v_readfirstlane_b32 s16, v12
	v_readfirstlane_b32 s17, v13
	s_mov_b32 s13, s12
	v_add_co_u32_e32 v8, vcc, v12, v36
	s_mov_b32 s14, s12
	s_mov_b32 s15, s12
	s_nop 0
	global_store_dwordx4 v36, v[0:3], s[16:17]
	v_addc_co_u32_e32 v9, vcc, 0, v13, vcc
	v_pk_mov_b32 v[0:1], s[12:13], s[12:13] op_sel:[0,1]
	v_pk_mov_b32 v[2:3], s[14:15], s[14:15] op_sel:[0,1]
	global_store_dwordx4 v36, v[0:3], s[16:17] offset:16
	global_store_dwordx4 v36, v[0:3], s[16:17] offset:32
	;; [unrolled: 1-line block ×3, first 2 shown]
	s_and_saveexec_b64 s[12:13], s[4:5]
	s_cbranch_execz .LBB12_242
; %bb.235:
	v_mov_b32_e32 v12, 0
	global_load_dwordx2 v[16:17], v12, s[10:11] offset:32 glc
	global_load_dwordx2 v[0:1], v12, s[10:11] offset:40
	v_mov_b32_e32 v14, s6
	v_mov_b32_e32 v15, s7
	s_waitcnt vmcnt(0)
	v_readfirstlane_b32 s14, v0
	v_readfirstlane_b32 s15, v1
	s_and_b64 s[14:15], s[14:15], s[6:7]
	s_mul_i32 s15, s15, 24
	s_mul_hi_u32 s16, s14, 24
	s_mul_i32 s14, s14, 24
	s_add_i32 s15, s16, s15
	v_mov_b32_e32 v0, s15
	v_add_co_u32_e32 v6, vcc, s14, v6
	v_addc_co_u32_e32 v7, vcc, v7, v0, vcc
	global_store_dwordx2 v[6:7], v[16:17], off
	buffer_wbl2
	s_waitcnt vmcnt(0)
	global_atomic_cmpswap_x2 v[2:3], v12, v[14:17], s[10:11] offset:32 glc
	s_waitcnt vmcnt(0)
	v_cmp_ne_u64_e32 vcc, v[2:3], v[16:17]
	s_and_saveexec_b64 s[14:15], vcc
	s_cbranch_execz .LBB12_238
; %bb.236:
	s_mov_b64 s[16:17], 0
.LBB12_237:                             ; =>This Inner Loop Header: Depth=1
	s_sleep 1
	global_store_dwordx2 v[6:7], v[2:3], off
	v_mov_b32_e32 v0, s6
	v_mov_b32_e32 v1, s7
	buffer_wbl2
	s_waitcnt vmcnt(0)
	global_atomic_cmpswap_x2 v[0:1], v12, v[0:3], s[10:11] offset:32 glc
	s_waitcnt vmcnt(0)
	v_cmp_eq_u64_e32 vcc, v[0:1], v[2:3]
	s_or_b64 s[16:17], vcc, s[16:17]
	v_pk_mov_b32 v[2:3], v[0:1], v[0:1] op_sel:[0,1]
	s_andn2_b64 exec, exec, s[16:17]
	s_cbranch_execnz .LBB12_237
.LBB12_238:
	s_or_b64 exec, exec, s[14:15]
	v_mov_b32_e32 v3, 0
	global_load_dwordx2 v[0:1], v3, s[10:11] offset:16
	s_mov_b64 s[14:15], exec
	v_mbcnt_lo_u32_b32 v2, s14, 0
	v_mbcnt_hi_u32_b32 v2, s15, v2
	v_cmp_eq_u32_e32 vcc, 0, v2
	s_and_saveexec_b64 s[16:17], vcc
	s_cbranch_execz .LBB12_240
; %bb.239:
	s_bcnt1_i32_b64 s14, s[14:15]
	v_mov_b32_e32 v2, s14
	buffer_wbl2
	s_waitcnt vmcnt(0)
	global_atomic_add_x2 v[0:1], v[2:3], off offset:8
.LBB12_240:
	s_or_b64 exec, exec, s[16:17]
	s_waitcnt vmcnt(0)
	global_load_dwordx2 v[2:3], v[0:1], off offset:16
	s_waitcnt vmcnt(0)
	v_cmp_eq_u64_e32 vcc, 0, v[2:3]
	s_cbranch_vccnz .LBB12_242
; %bb.241:
	global_load_dword v0, v[0:1], off offset:24
	v_mov_b32_e32 v1, 0
	buffer_wbl2
	s_waitcnt vmcnt(0)
	global_store_dwordx2 v[2:3], v[0:1], off
	v_and_b32_e32 v0, 0xffffff, v0
	v_readfirstlane_b32 m0, v0
	s_sendmsg sendmsg(MSG_INTERRUPT)
.LBB12_242:
	s_or_b64 exec, exec, s[12:13]
	s_branch .LBB12_246
.LBB12_243:                             ;   in Loop: Header=BB12_246 Depth=1
	s_or_b64 exec, exec, s[12:13]
	v_readfirstlane_b32 s12, v0
	s_cmp_eq_u32 s12, 0
	s_cbranch_scc1 .LBB12_245
; %bb.244:                              ;   in Loop: Header=BB12_246 Depth=1
	s_sleep 1
	s_cbranch_execnz .LBB12_246
	s_branch .LBB12_248
.LBB12_245:
	s_branch .LBB12_248
.LBB12_246:                             ; =>This Inner Loop Header: Depth=1
	v_mov_b32_e32 v0, 1
	s_and_saveexec_b64 s[12:13], s[4:5]
	s_cbranch_execz .LBB12_243
; %bb.247:                              ;   in Loop: Header=BB12_246 Depth=1
	global_load_dword v0, v[10:11], off offset:20 glc
	s_waitcnt vmcnt(0)
	buffer_invl2
	buffer_wbinvl1_vol
	v_and_b32_e32 v0, 1, v0
	s_branch .LBB12_243
.LBB12_248:
	global_load_dwordx2 v[6:7], v[8:9], off
	s_and_saveexec_b64 s[12:13], s[4:5]
	s_cbranch_execz .LBB12_251
; %bb.249:
	v_mov_b32_e32 v10, 0
	global_load_dwordx2 v[8:9], v10, s[10:11] offset:40
	global_load_dwordx2 v[12:13], v10, s[10:11] offset:24 glc
	global_load_dwordx2 v[14:15], v10, s[10:11]
	v_mov_b32_e32 v1, s7
	s_mov_b64 s[4:5], 0
	s_waitcnt vmcnt(2)
	v_add_co_u32_e32 v3, vcc, 1, v8
	v_addc_co_u32_e32 v11, vcc, 0, v9, vcc
	v_add_co_u32_e32 v0, vcc, s6, v3
	v_addc_co_u32_e32 v1, vcc, v11, v1, vcc
	v_cmp_eq_u64_e32 vcc, 0, v[0:1]
	v_cndmask_b32_e32 v1, v1, v11, vcc
	v_cndmask_b32_e32 v0, v0, v3, vcc
	v_and_b32_e32 v3, v1, v9
	v_and_b32_e32 v8, v0, v8
	v_mul_lo_u32 v3, v3, 24
	v_mul_hi_u32 v9, v8, 24
	v_mul_lo_u32 v8, v8, 24
	v_add_u32_e32 v3, v9, v3
	s_waitcnt vmcnt(0)
	v_add_co_u32_e32 v8, vcc, v14, v8
	v_addc_co_u32_e32 v9, vcc, v15, v3, vcc
	v_mov_b32_e32 v2, v12
	global_store_dwordx2 v[8:9], v[12:13], off
	v_mov_b32_e32 v3, v13
	buffer_wbl2
	s_waitcnt vmcnt(0)
	global_atomic_cmpswap_x2 v[2:3], v10, v[0:3], s[10:11] offset:24 glc
	s_waitcnt vmcnt(0)
	v_cmp_ne_u64_e32 vcc, v[2:3], v[12:13]
	s_and_b64 exec, exec, vcc
	s_cbranch_execz .LBB12_251
.LBB12_250:                             ; =>This Inner Loop Header: Depth=1
	s_sleep 1
	global_store_dwordx2 v[8:9], v[2:3], off
	buffer_wbl2
	s_waitcnt vmcnt(0)
	global_atomic_cmpswap_x2 v[12:13], v10, v[0:3], s[10:11] offset:24 glc
	s_waitcnt vmcnt(0)
	v_cmp_eq_u64_e32 vcc, v[12:13], v[2:3]
	s_or_b64 s[4:5], vcc, s[4:5]
	v_pk_mov_b32 v[2:3], v[12:13], v[12:13] op_sel:[0,1]
	s_andn2_b64 exec, exec, s[4:5]
	s_cbranch_execnz .LBB12_250
.LBB12_251:
	s_or_b64 exec, exec, s[12:13]
.LBB12_252:
	v_readfirstlane_b32 s4, v37
	v_cmp_eq_u32_e64 s[4:5], s4, v37
	v_pk_mov_b32 v[10:11], 0, 0
	s_and_saveexec_b64 s[6:7], s[4:5]
	s_cbranch_execz .LBB12_258
; %bb.253:
	s_waitcnt vmcnt(0)
	v_mov_b32_e32 v0, 0
	global_load_dwordx2 v[12:13], v0, s[10:11] offset:24 glc
	s_waitcnt vmcnt(0)
	buffer_invl2
	buffer_wbinvl1_vol
	global_load_dwordx2 v[2:3], v0, s[10:11] offset:40
	global_load_dwordx2 v[8:9], v0, s[10:11]
	s_waitcnt vmcnt(1)
	v_and_b32_e32 v1, v2, v12
	v_and_b32_e32 v2, v3, v13
	v_mul_lo_u32 v2, v2, 24
	v_mul_hi_u32 v3, v1, 24
	v_mul_lo_u32 v1, v1, 24
	v_add_u32_e32 v3, v3, v2
	s_waitcnt vmcnt(0)
	v_add_co_u32_e32 v2, vcc, v8, v1
	v_addc_co_u32_e32 v3, vcc, v9, v3, vcc
	global_load_dwordx2 v[10:11], v[2:3], off glc
	s_waitcnt vmcnt(0)
	global_atomic_cmpswap_x2 v[10:11], v0, v[10:13], s[10:11] offset:24 glc
	s_waitcnt vmcnt(0)
	buffer_invl2
	buffer_wbinvl1_vol
	v_cmp_ne_u64_e32 vcc, v[10:11], v[12:13]
	s_and_saveexec_b64 s[12:13], vcc
	s_cbranch_execz .LBB12_257
; %bb.254:
	s_mov_b64 s[14:15], 0
.LBB12_255:                             ; =>This Inner Loop Header: Depth=1
	s_sleep 1
	global_load_dwordx2 v[2:3], v0, s[10:11] offset:40
	global_load_dwordx2 v[8:9], v0, s[10:11]
	v_pk_mov_b32 v[12:13], v[10:11], v[10:11] op_sel:[0,1]
	s_waitcnt vmcnt(1)
	v_and_b32_e32 v2, v2, v12
	v_and_b32_e32 v1, v3, v13
	s_waitcnt vmcnt(0)
	v_mad_u64_u32 v[2:3], s[16:17], v2, 24, v[8:9]
	v_mov_b32_e32 v8, v3
	v_mad_u64_u32 v[8:9], s[16:17], v1, 24, v[8:9]
	v_mov_b32_e32 v3, v8
	global_load_dwordx2 v[10:11], v[2:3], off glc
	s_waitcnt vmcnt(0)
	global_atomic_cmpswap_x2 v[10:11], v0, v[10:13], s[10:11] offset:24 glc
	s_waitcnt vmcnt(0)
	buffer_invl2
	buffer_wbinvl1_vol
	v_cmp_eq_u64_e32 vcc, v[10:11], v[12:13]
	s_or_b64 s[14:15], vcc, s[14:15]
	s_andn2_b64 exec, exec, s[14:15]
	s_cbranch_execnz .LBB12_255
; %bb.256:
	s_or_b64 exec, exec, s[14:15]
.LBB12_257:
	s_or_b64 exec, exec, s[12:13]
.LBB12_258:
	s_or_b64 exec, exec, s[6:7]
	s_waitcnt vmcnt(0)
	v_mov_b32_e32 v9, 0
	global_load_dwordx2 v[12:13], v9, s[10:11] offset:40
	global_load_dwordx4 v[0:3], v9, s[10:11]
	v_readfirstlane_b32 s6, v10
	v_readfirstlane_b32 s7, v11
	s_mov_b64 s[12:13], exec
	s_waitcnt vmcnt(1)
	v_readfirstlane_b32 s14, v12
	v_readfirstlane_b32 s15, v13
	s_and_b64 s[14:15], s[6:7], s[14:15]
	s_mul_i32 s16, s15, 24
	s_mul_hi_u32 s17, s14, 24
	s_mul_i32 s18, s14, 24
	s_add_i32 s16, s17, s16
	v_mov_b32_e32 v8, s16
	s_waitcnt vmcnt(0)
	v_add_co_u32_e32 v10, vcc, s18, v0
	v_addc_co_u32_e32 v11, vcc, v1, v8, vcc
	s_and_saveexec_b64 s[16:17], s[4:5]
	s_cbranch_execz .LBB12_260
; %bb.259:
	v_pk_mov_b32 v[12:13], s[12:13], s[12:13] op_sel:[0,1]
	v_mov_b32_e32 v14, 2
	v_mov_b32_e32 v15, 1
	global_store_dwordx4 v[10:11], v[12:15], off offset:8
.LBB12_260:
	s_or_b64 exec, exec, s[16:17]
	s_lshl_b64 s[12:13], s[14:15], 12
	v_mov_b32_e32 v8, s13
	v_add_co_u32_e32 v2, vcc, s12, v2
	s_movk_i32 s12, 0xff1f
	v_addc_co_u32_e32 v3, vcc, v3, v8, vcc
	v_and_or_b32 v6, v6, s12, 32
	s_mov_b32 s12, 0
	v_mov_b32_e32 v8, 0x13e
	v_readfirstlane_b32 s16, v2
	v_readfirstlane_b32 s17, v3
	s_mov_b32 s13, s12
	v_add_co_u32_e32 v12, vcc, v2, v36
	s_mov_b32 s14, s12
	s_mov_b32 s15, s12
	s_nop 0
	global_store_dwordx4 v36, v[6:9], s[16:17]
	v_addc_co_u32_e32 v13, vcc, 0, v3, vcc
	v_pk_mov_b32 v[6:7], s[12:13], s[12:13] op_sel:[0,1]
	v_pk_mov_b32 v[8:9], s[14:15], s[14:15] op_sel:[0,1]
	global_store_dwordx4 v36, v[6:9], s[16:17] offset:16
	global_store_dwordx4 v36, v[6:9], s[16:17] offset:32
	global_store_dwordx4 v36, v[6:9], s[16:17] offset:48
	s_and_saveexec_b64 s[12:13], s[4:5]
	s_cbranch_execz .LBB12_268
; %bb.261:
	v_mov_b32_e32 v8, 0
	global_load_dwordx2 v[16:17], v8, s[10:11] offset:32 glc
	global_load_dwordx2 v[2:3], v8, s[10:11] offset:40
	v_mov_b32_e32 v14, s6
	v_mov_b32_e32 v15, s7
	s_waitcnt vmcnt(0)
	v_readfirstlane_b32 s14, v2
	v_readfirstlane_b32 s15, v3
	s_and_b64 s[14:15], s[14:15], s[6:7]
	s_mul_i32 s15, s15, 24
	s_mul_hi_u32 s16, s14, 24
	s_mul_i32 s14, s14, 24
	s_add_i32 s15, s16, s15
	v_mov_b32_e32 v2, s15
	v_add_co_u32_e32 v6, vcc, s14, v0
	v_addc_co_u32_e32 v7, vcc, v1, v2, vcc
	global_store_dwordx2 v[6:7], v[16:17], off
	buffer_wbl2
	s_waitcnt vmcnt(0)
	global_atomic_cmpswap_x2 v[2:3], v8, v[14:17], s[10:11] offset:32 glc
	s_waitcnt vmcnt(0)
	v_cmp_ne_u64_e32 vcc, v[2:3], v[16:17]
	s_and_saveexec_b64 s[14:15], vcc
	s_cbranch_execz .LBB12_264
; %bb.262:
	s_mov_b64 s[16:17], 0
.LBB12_263:                             ; =>This Inner Loop Header: Depth=1
	s_sleep 1
	global_store_dwordx2 v[6:7], v[2:3], off
	v_mov_b32_e32 v0, s6
	v_mov_b32_e32 v1, s7
	buffer_wbl2
	s_waitcnt vmcnt(0)
	global_atomic_cmpswap_x2 v[0:1], v8, v[0:3], s[10:11] offset:32 glc
	s_waitcnt vmcnt(0)
	v_cmp_eq_u64_e32 vcc, v[0:1], v[2:3]
	s_or_b64 s[16:17], vcc, s[16:17]
	v_pk_mov_b32 v[2:3], v[0:1], v[0:1] op_sel:[0,1]
	s_andn2_b64 exec, exec, s[16:17]
	s_cbranch_execnz .LBB12_263
.LBB12_264:
	s_or_b64 exec, exec, s[14:15]
	v_mov_b32_e32 v3, 0
	global_load_dwordx2 v[0:1], v3, s[10:11] offset:16
	s_mov_b64 s[14:15], exec
	v_mbcnt_lo_u32_b32 v2, s14, 0
	v_mbcnt_hi_u32_b32 v2, s15, v2
	v_cmp_eq_u32_e32 vcc, 0, v2
	s_and_saveexec_b64 s[16:17], vcc
	s_cbranch_execz .LBB12_266
; %bb.265:
	s_bcnt1_i32_b64 s14, s[14:15]
	v_mov_b32_e32 v2, s14
	buffer_wbl2
	s_waitcnt vmcnt(0)
	global_atomic_add_x2 v[0:1], v[2:3], off offset:8
.LBB12_266:
	s_or_b64 exec, exec, s[16:17]
	s_waitcnt vmcnt(0)
	global_load_dwordx2 v[2:3], v[0:1], off offset:16
	s_waitcnt vmcnt(0)
	v_cmp_eq_u64_e32 vcc, 0, v[2:3]
	s_cbranch_vccnz .LBB12_268
; %bb.267:
	global_load_dword v0, v[0:1], off offset:24
	v_mov_b32_e32 v1, 0
	buffer_wbl2
	s_waitcnt vmcnt(0)
	global_store_dwordx2 v[2:3], v[0:1], off
	v_and_b32_e32 v0, 0xffffff, v0
	v_readfirstlane_b32 m0, v0
	s_sendmsg sendmsg(MSG_INTERRUPT)
.LBB12_268:
	s_or_b64 exec, exec, s[12:13]
	s_branch .LBB12_272
.LBB12_269:                             ;   in Loop: Header=BB12_272 Depth=1
	s_or_b64 exec, exec, s[12:13]
	v_readfirstlane_b32 s12, v0
	s_cmp_eq_u32 s12, 0
	s_cbranch_scc1 .LBB12_271
; %bb.270:                              ;   in Loop: Header=BB12_272 Depth=1
	s_sleep 1
	s_cbranch_execnz .LBB12_272
	s_branch .LBB12_274
.LBB12_271:
	s_branch .LBB12_274
.LBB12_272:                             ; =>This Inner Loop Header: Depth=1
	v_mov_b32_e32 v0, 1
	s_and_saveexec_b64 s[12:13], s[4:5]
	s_cbranch_execz .LBB12_269
; %bb.273:                              ;   in Loop: Header=BB12_272 Depth=1
	global_load_dword v0, v[10:11], off offset:20 glc
	s_waitcnt vmcnt(0)
	buffer_invl2
	buffer_wbinvl1_vol
	v_and_b32_e32 v0, 1, v0
	s_branch .LBB12_269
.LBB12_274:
	global_load_dwordx2 v[0:1], v[12:13], off
	s_and_saveexec_b64 s[12:13], s[4:5]
	s_cbranch_execz .LBB12_277
; %bb.275:
	v_mov_b32_e32 v10, 0
	global_load_dwordx2 v[2:3], v10, s[10:11] offset:40
	global_load_dwordx2 v[12:13], v10, s[10:11] offset:24 glc
	global_load_dwordx2 v[14:15], v10, s[10:11]
	v_mov_b32_e32 v7, s7
	s_mov_b64 s[4:5], 0
	s_waitcnt vmcnt(2)
	v_add_co_u32_e32 v9, vcc, 1, v2
	v_addc_co_u32_e32 v11, vcc, 0, v3, vcc
	v_add_co_u32_e32 v6, vcc, s6, v9
	v_addc_co_u32_e32 v7, vcc, v11, v7, vcc
	v_cmp_eq_u64_e32 vcc, 0, v[6:7]
	v_cndmask_b32_e32 v7, v7, v11, vcc
	v_cndmask_b32_e32 v6, v6, v9, vcc
	v_and_b32_e32 v3, v7, v3
	v_and_b32_e32 v2, v6, v2
	v_mul_lo_u32 v3, v3, 24
	v_mul_hi_u32 v9, v2, 24
	v_mul_lo_u32 v2, v2, 24
	v_add_u32_e32 v3, v9, v3
	s_waitcnt vmcnt(0)
	v_add_co_u32_e32 v2, vcc, v14, v2
	v_addc_co_u32_e32 v3, vcc, v15, v3, vcc
	v_mov_b32_e32 v8, v12
	global_store_dwordx2 v[2:3], v[12:13], off
	v_mov_b32_e32 v9, v13
	buffer_wbl2
	s_waitcnt vmcnt(0)
	global_atomic_cmpswap_x2 v[8:9], v10, v[6:9], s[10:11] offset:24 glc
	s_waitcnt vmcnt(0)
	v_cmp_ne_u64_e32 vcc, v[8:9], v[12:13]
	s_and_b64 exec, exec, vcc
	s_cbranch_execz .LBB12_277
.LBB12_276:                             ; =>This Inner Loop Header: Depth=1
	s_sleep 1
	global_store_dwordx2 v[2:3], v[8:9], off
	buffer_wbl2
	s_waitcnt vmcnt(0)
	global_atomic_cmpswap_x2 v[12:13], v10, v[6:9], s[10:11] offset:24 glc
	s_waitcnt vmcnt(0)
	v_cmp_eq_u64_e32 vcc, v[12:13], v[8:9]
	s_or_b64 s[4:5], vcc, s[4:5]
	v_pk_mov_b32 v[8:9], v[12:13], v[12:13] op_sel:[0,1]
	s_andn2_b64 exec, exec, s[4:5]
	s_cbranch_execnz .LBB12_276
.LBB12_277:
	s_or_b64 exec, exec, s[12:13]
	s_mov_b64 s[4:5], 0
	v_pk_mov_b32 v[6:7], v[4:5], v[4:5] op_sel:[0,1]
.LBB12_278:                             ; =>This Inner Loop Header: Depth=1
	flat_load_ubyte v8, v[6:7]
	v_add_co_u32_e32 v2, vcc, 1, v6
	v_addc_co_u32_e32 v3, vcc, 0, v7, vcc
	v_pk_mov_b32 v[6:7], v[2:3], v[2:3] op_sel:[0,1]
	s_waitcnt vmcnt(0) lgkmcnt(0)
	v_cmp_eq_u16_e32 vcc, 0, v8
	s_or_b64 s[4:5], vcc, s[4:5]
	s_andn2_b64 exec, exec, s[4:5]
	s_cbranch_execnz .LBB12_278
; %bb.279:
	s_or_b64 exec, exec, s[4:5]
	s_mov_b64 s[6:7], 0
	v_cmp_ne_u64_e32 vcc, 0, v[4:5]
	s_and_saveexec_b64 s[4:5], vcc
	s_xor_b64 s[12:13], exec, s[4:5]
	s_cbranch_execz .LBB12_365
; %bb.280:
	v_sub_u32_e32 v26, v2, v4
	v_ashrrev_i32_e32 v27, 31, v26
	v_and_b32_e32 v28, 2, v0
	v_mov_b32_e32 v31, 0
	v_and_b32_e32 v0, -3, v0
	s_mov_b32 s22, 0
	s_movk_i32 s23, 0xff1f
	v_mov_b32_e32 v8, 2
	v_mov_b32_e32 v9, 1
	s_branch .LBB12_282
.LBB12_281:                             ;   in Loop: Header=BB12_282 Depth=1
	s_or_b64 exec, exec, s[16:17]
	v_sub_co_u32_e32 v26, vcc, v26, v32
	v_subb_co_u32_e32 v27, vcc, v27, v33, vcc
	v_cmp_eq_u64_e32 vcc, 0, v[26:27]
	s_or_b64 s[6:7], vcc, s[6:7]
	v_add_co_u32_e32 v4, vcc, v4, v32
	v_addc_co_u32_e32 v5, vcc, v5, v33, vcc
	s_andn2_b64 exec, exec, s[6:7]
	s_cbranch_execz .LBB12_364
.LBB12_282:                             ; =>This Loop Header: Depth=1
                                        ;     Child Loop BB12_285 Depth 2
                                        ;     Child Loop BB12_293 Depth 2
	;; [unrolled: 1-line block ×11, first 2 shown]
	v_cmp_gt_u64_e32 vcc, 56, v[26:27]
	v_cndmask_b32_e32 v33, 0, v27, vcc
	v_cndmask_b32_e32 v32, 56, v26, vcc
	v_cmp_gt_u64_e32 vcc, 8, v[26:27]
                                        ; implicit-def: $vgpr2_vgpr3
                                        ; implicit-def: $sgpr14
	s_and_saveexec_b64 s[4:5], vcc
	s_xor_b64 s[4:5], exec, s[4:5]
	s_cbranch_execz .LBB12_288
; %bb.283:                              ;   in Loop: Header=BB12_282 Depth=1
	s_mov_b64 s[16:17], 0
	v_cmp_ne_u64_e32 vcc, 0, v[26:27]
	s_waitcnt vmcnt(0)
	v_pk_mov_b32 v[2:3], 0, 0
	s_and_saveexec_b64 s[14:15], vcc
	s_cbranch_execz .LBB12_287
; %bb.284:                              ;   in Loop: Header=BB12_282 Depth=1
	v_lshlrev_b64 v[6:7], 3, v[32:33]
	v_pk_mov_b32 v[2:3], 0, 0
	v_pk_mov_b32 v[10:11], v[4:5], v[4:5] op_sel:[0,1]
	s_mov_b64 s[18:19], 0
.LBB12_285:                             ;   Parent Loop BB12_282 Depth=1
                                        ; =>  This Inner Loop Header: Depth=2
	flat_load_ubyte v7, v[10:11]
	v_mov_b32_e32 v13, s22
	v_add_co_u32_e32 v10, vcc, 1, v10
	v_addc_co_u32_e32 v11, vcc, 0, v11, vcc
	s_waitcnt vmcnt(0) lgkmcnt(0)
	v_and_b32_e32 v12, 0xffff, v7
	v_lshlrev_b64 v[12:13], s18, v[12:13]
	s_add_u32 s18, s18, 8
	s_addc_u32 s19, s19, 0
	v_cmp_eq_u32_e32 vcc, s18, v6
	v_or_b32_e32 v3, v13, v3
	s_or_b64 s[16:17], vcc, s[16:17]
	v_or_b32_e32 v2, v12, v2
	s_andn2_b64 exec, exec, s[16:17]
	s_cbranch_execnz .LBB12_285
; %bb.286:                              ;   in Loop: Header=BB12_282 Depth=1
	s_or_b64 exec, exec, s[16:17]
.LBB12_287:                             ;   in Loop: Header=BB12_282 Depth=1
	s_or_b64 exec, exec, s[14:15]
	s_mov_b32 s14, 0
.LBB12_288:                             ;   in Loop: Header=BB12_282 Depth=1
	s_or_saveexec_b64 s[4:5], s[4:5]
	v_mov_b32_e32 v12, s14
	v_pk_mov_b32 v[6:7], v[4:5], v[4:5] op_sel:[0,1]
	s_xor_b64 exec, exec, s[4:5]
	s_cbranch_execz .LBB12_290
; %bb.289:                              ;   in Loop: Header=BB12_282 Depth=1
	s_waitcnt vmcnt(0)
	flat_load_dwordx2 v[2:3], v[4:5]
	v_add_u32_e32 v12, -8, v32
	s_waitcnt vmcnt(0) lgkmcnt(0)
	v_and_b32_e32 v6, 0xff, v3
	v_and_b32_e32 v7, 0xff00, v3
	;; [unrolled: 1-line block ×4, first 2 shown]
	v_or_b32_e32 v6, v6, v7
	v_or3_b32 v3, v6, v10, v3
	v_add_co_u32_e32 v6, vcc, 8, v4
	v_or3_b32 v2, v2, 0, 0
	v_addc_co_u32_e32 v7, vcc, 0, v5, vcc
.LBB12_290:                             ;   in Loop: Header=BB12_282 Depth=1
	s_or_b64 exec, exec, s[4:5]
	v_cmp_gt_u32_e32 vcc, 8, v12
                                        ; implicit-def: $vgpr10_vgpr11
                                        ; implicit-def: $sgpr14
	s_and_saveexec_b64 s[4:5], vcc
	s_xor_b64 s[4:5], exec, s[4:5]
	s_cbranch_execz .LBB12_296
; %bb.291:                              ;   in Loop: Header=BB12_282 Depth=1
	v_cmp_ne_u32_e32 vcc, 0, v12
	v_pk_mov_b32 v[10:11], 0, 0
	s_and_saveexec_b64 s[14:15], vcc
	s_cbranch_execz .LBB12_295
; %bb.292:                              ;   in Loop: Header=BB12_282 Depth=1
	s_mov_b64 s[16:17], 0
	v_pk_mov_b32 v[10:11], 0, 0
	s_mov_b64 s[18:19], 0
	s_mov_b64 s[20:21], 0
.LBB12_293:                             ;   Parent Loop BB12_282 Depth=1
                                        ; =>  This Inner Loop Header: Depth=2
	v_mov_b32_e32 v13, s21
	v_add_co_u32_e32 v14, vcc, s20, v6
	v_addc_co_u32_e32 v15, vcc, v7, v13, vcc
	flat_load_ubyte v13, v[14:15]
	s_add_u32 s20, s20, 1
	v_mov_b32_e32 v15, s22
	s_addc_u32 s21, s21, 0
	v_cmp_eq_u32_e32 vcc, s20, v12
	s_waitcnt vmcnt(0) lgkmcnt(0)
	v_and_b32_e32 v14, 0xffff, v13
	v_lshlrev_b64 v[14:15], s18, v[14:15]
	s_add_u32 s18, s18, 8
	s_addc_u32 s19, s19, 0
	v_or_b32_e32 v11, v15, v11
	s_or_b64 s[16:17], vcc, s[16:17]
	v_or_b32_e32 v10, v14, v10
	s_andn2_b64 exec, exec, s[16:17]
	s_cbranch_execnz .LBB12_293
; %bb.294:                              ;   in Loop: Header=BB12_282 Depth=1
	s_or_b64 exec, exec, s[16:17]
.LBB12_295:                             ;   in Loop: Header=BB12_282 Depth=1
	s_or_b64 exec, exec, s[14:15]
	s_mov_b32 s14, 0
                                        ; implicit-def: $vgpr12
.LBB12_296:                             ;   in Loop: Header=BB12_282 Depth=1
	s_or_saveexec_b64 s[4:5], s[4:5]
	v_mov_b32_e32 v14, s14
	s_xor_b64 exec, exec, s[4:5]
	s_cbranch_execz .LBB12_298
; %bb.297:                              ;   in Loop: Header=BB12_282 Depth=1
	flat_load_dwordx2 v[10:11], v[6:7]
	v_add_u32_e32 v14, -8, v12
	v_add_co_u32_e32 v6, vcc, 8, v6
	v_addc_co_u32_e32 v7, vcc, 0, v7, vcc
	s_waitcnt vmcnt(0) lgkmcnt(0)
	v_and_b32_e32 v12, 0xff, v11
	v_and_b32_e32 v13, 0xff00, v11
	v_and_b32_e32 v15, 0xff0000, v11
	v_and_b32_e32 v11, 0xff000000, v11
	v_or_b32_e32 v12, v12, v13
	v_or3_b32 v10, v10, 0, 0
	v_or3_b32 v11, v12, v15, v11
.LBB12_298:                             ;   in Loop: Header=BB12_282 Depth=1
	s_or_b64 exec, exec, s[4:5]
	v_cmp_gt_u32_e32 vcc, 8, v14
                                        ; implicit-def: $sgpr14
	s_and_saveexec_b64 s[4:5], vcc
	s_xor_b64 s[4:5], exec, s[4:5]
	s_cbranch_execz .LBB12_304
; %bb.299:                              ;   in Loop: Header=BB12_282 Depth=1
	v_cmp_ne_u32_e32 vcc, 0, v14
	v_pk_mov_b32 v[12:13], 0, 0
	s_and_saveexec_b64 s[14:15], vcc
	s_cbranch_execz .LBB12_303
; %bb.300:                              ;   in Loop: Header=BB12_282 Depth=1
	s_mov_b64 s[16:17], 0
	v_pk_mov_b32 v[12:13], 0, 0
	s_mov_b64 s[18:19], 0
	s_mov_b64 s[20:21], 0
.LBB12_301:                             ;   Parent Loop BB12_282 Depth=1
                                        ; =>  This Inner Loop Header: Depth=2
	v_mov_b32_e32 v15, s21
	v_add_co_u32_e32 v16, vcc, s20, v6
	v_addc_co_u32_e32 v17, vcc, v7, v15, vcc
	flat_load_ubyte v15, v[16:17]
	s_add_u32 s20, s20, 1
	v_mov_b32_e32 v17, s22
	s_addc_u32 s21, s21, 0
	v_cmp_eq_u32_e32 vcc, s20, v14
	s_waitcnt vmcnt(0) lgkmcnt(0)
	v_and_b32_e32 v16, 0xffff, v15
	v_lshlrev_b64 v[16:17], s18, v[16:17]
	s_add_u32 s18, s18, 8
	s_addc_u32 s19, s19, 0
	v_or_b32_e32 v13, v17, v13
	s_or_b64 s[16:17], vcc, s[16:17]
	v_or_b32_e32 v12, v16, v12
	s_andn2_b64 exec, exec, s[16:17]
	s_cbranch_execnz .LBB12_301
; %bb.302:                              ;   in Loop: Header=BB12_282 Depth=1
	s_or_b64 exec, exec, s[16:17]
.LBB12_303:                             ;   in Loop: Header=BB12_282 Depth=1
	s_or_b64 exec, exec, s[14:15]
	s_mov_b32 s14, 0
                                        ; implicit-def: $vgpr14
.LBB12_304:                             ;   in Loop: Header=BB12_282 Depth=1
	s_or_saveexec_b64 s[4:5], s[4:5]
	v_mov_b32_e32 v16, s14
	s_xor_b64 exec, exec, s[4:5]
	s_cbranch_execz .LBB12_306
; %bb.305:                              ;   in Loop: Header=BB12_282 Depth=1
	flat_load_dwordx2 v[12:13], v[6:7]
	v_add_u32_e32 v16, -8, v14
	v_add_co_u32_e32 v6, vcc, 8, v6
	v_addc_co_u32_e32 v7, vcc, 0, v7, vcc
	s_waitcnt vmcnt(0) lgkmcnt(0)
	v_and_b32_e32 v14, 0xff, v13
	v_and_b32_e32 v15, 0xff00, v13
	;; [unrolled: 1-line block ×4, first 2 shown]
	v_or_b32_e32 v14, v14, v15
	v_or3_b32 v12, v12, 0, 0
	v_or3_b32 v13, v14, v17, v13
.LBB12_306:                             ;   in Loop: Header=BB12_282 Depth=1
	s_or_b64 exec, exec, s[4:5]
	v_cmp_gt_u32_e32 vcc, 8, v16
                                        ; implicit-def: $vgpr14_vgpr15
                                        ; implicit-def: $sgpr14
	s_and_saveexec_b64 s[4:5], vcc
	s_xor_b64 s[4:5], exec, s[4:5]
	s_cbranch_execz .LBB12_312
; %bb.307:                              ;   in Loop: Header=BB12_282 Depth=1
	v_cmp_ne_u32_e32 vcc, 0, v16
	v_pk_mov_b32 v[14:15], 0, 0
	s_and_saveexec_b64 s[14:15], vcc
	s_cbranch_execz .LBB12_311
; %bb.308:                              ;   in Loop: Header=BB12_282 Depth=1
	s_mov_b64 s[16:17], 0
	v_pk_mov_b32 v[14:15], 0, 0
	s_mov_b64 s[18:19], 0
	s_mov_b64 s[20:21], 0
.LBB12_309:                             ;   Parent Loop BB12_282 Depth=1
                                        ; =>  This Inner Loop Header: Depth=2
	v_mov_b32_e32 v17, s21
	v_add_co_u32_e32 v18, vcc, s20, v6
	v_addc_co_u32_e32 v19, vcc, v7, v17, vcc
	flat_load_ubyte v17, v[18:19]
	s_add_u32 s20, s20, 1
	v_mov_b32_e32 v19, s22
	s_addc_u32 s21, s21, 0
	v_cmp_eq_u32_e32 vcc, s20, v16
	s_waitcnt vmcnt(0) lgkmcnt(0)
	v_and_b32_e32 v18, 0xffff, v17
	v_lshlrev_b64 v[18:19], s18, v[18:19]
	s_add_u32 s18, s18, 8
	s_addc_u32 s19, s19, 0
	v_or_b32_e32 v15, v19, v15
	s_or_b64 s[16:17], vcc, s[16:17]
	v_or_b32_e32 v14, v18, v14
	s_andn2_b64 exec, exec, s[16:17]
	s_cbranch_execnz .LBB12_309
; %bb.310:                              ;   in Loop: Header=BB12_282 Depth=1
	s_or_b64 exec, exec, s[16:17]
.LBB12_311:                             ;   in Loop: Header=BB12_282 Depth=1
	s_or_b64 exec, exec, s[14:15]
	s_mov_b32 s14, 0
                                        ; implicit-def: $vgpr16
.LBB12_312:                             ;   in Loop: Header=BB12_282 Depth=1
	s_or_saveexec_b64 s[4:5], s[4:5]
	v_mov_b32_e32 v18, s14
	s_xor_b64 exec, exec, s[4:5]
	s_cbranch_execz .LBB12_314
; %bb.313:                              ;   in Loop: Header=BB12_282 Depth=1
	flat_load_dwordx2 v[14:15], v[6:7]
	v_add_u32_e32 v18, -8, v16
	v_add_co_u32_e32 v6, vcc, 8, v6
	v_addc_co_u32_e32 v7, vcc, 0, v7, vcc
	s_waitcnt vmcnt(0) lgkmcnt(0)
	v_and_b32_e32 v16, 0xff, v15
	v_and_b32_e32 v17, 0xff00, v15
	;; [unrolled: 1-line block ×4, first 2 shown]
	v_or_b32_e32 v16, v16, v17
	v_or3_b32 v14, v14, 0, 0
	v_or3_b32 v15, v16, v19, v15
.LBB12_314:                             ;   in Loop: Header=BB12_282 Depth=1
	s_or_b64 exec, exec, s[4:5]
	v_cmp_gt_u32_e32 vcc, 8, v18
                                        ; implicit-def: $sgpr14
	s_and_saveexec_b64 s[4:5], vcc
	s_xor_b64 s[4:5], exec, s[4:5]
	s_cbranch_execz .LBB12_320
; %bb.315:                              ;   in Loop: Header=BB12_282 Depth=1
	v_cmp_ne_u32_e32 vcc, 0, v18
	v_pk_mov_b32 v[16:17], 0, 0
	s_and_saveexec_b64 s[14:15], vcc
	s_cbranch_execz .LBB12_319
; %bb.316:                              ;   in Loop: Header=BB12_282 Depth=1
	s_mov_b64 s[16:17], 0
	v_pk_mov_b32 v[16:17], 0, 0
	s_mov_b64 s[18:19], 0
	s_mov_b64 s[20:21], 0
.LBB12_317:                             ;   Parent Loop BB12_282 Depth=1
                                        ; =>  This Inner Loop Header: Depth=2
	v_mov_b32_e32 v19, s21
	v_add_co_u32_e32 v20, vcc, s20, v6
	v_addc_co_u32_e32 v21, vcc, v7, v19, vcc
	flat_load_ubyte v19, v[20:21]
	s_add_u32 s20, s20, 1
	v_mov_b32_e32 v21, s22
	s_addc_u32 s21, s21, 0
	v_cmp_eq_u32_e32 vcc, s20, v18
	s_waitcnt vmcnt(0) lgkmcnt(0)
	v_and_b32_e32 v20, 0xffff, v19
	v_lshlrev_b64 v[20:21], s18, v[20:21]
	s_add_u32 s18, s18, 8
	s_addc_u32 s19, s19, 0
	v_or_b32_e32 v17, v21, v17
	s_or_b64 s[16:17], vcc, s[16:17]
	v_or_b32_e32 v16, v20, v16
	s_andn2_b64 exec, exec, s[16:17]
	s_cbranch_execnz .LBB12_317
; %bb.318:                              ;   in Loop: Header=BB12_282 Depth=1
	s_or_b64 exec, exec, s[16:17]
.LBB12_319:                             ;   in Loop: Header=BB12_282 Depth=1
	s_or_b64 exec, exec, s[14:15]
	s_mov_b32 s14, 0
                                        ; implicit-def: $vgpr18
.LBB12_320:                             ;   in Loop: Header=BB12_282 Depth=1
	s_or_saveexec_b64 s[4:5], s[4:5]
	v_mov_b32_e32 v20, s14
	s_xor_b64 exec, exec, s[4:5]
	s_cbranch_execz .LBB12_322
; %bb.321:                              ;   in Loop: Header=BB12_282 Depth=1
	flat_load_dwordx2 v[16:17], v[6:7]
	v_add_u32_e32 v20, -8, v18
	v_add_co_u32_e32 v6, vcc, 8, v6
	v_addc_co_u32_e32 v7, vcc, 0, v7, vcc
	s_waitcnt vmcnt(0) lgkmcnt(0)
	v_and_b32_e32 v18, 0xff, v17
	v_and_b32_e32 v19, 0xff00, v17
	;; [unrolled: 1-line block ×4, first 2 shown]
	v_or_b32_e32 v18, v18, v19
	v_or3_b32 v16, v16, 0, 0
	v_or3_b32 v17, v18, v21, v17
.LBB12_322:                             ;   in Loop: Header=BB12_282 Depth=1
	s_or_b64 exec, exec, s[4:5]
	v_cmp_gt_u32_e32 vcc, 8, v20
                                        ; implicit-def: $vgpr18_vgpr19
                                        ; implicit-def: $sgpr14
	s_and_saveexec_b64 s[4:5], vcc
	s_xor_b64 s[4:5], exec, s[4:5]
	s_cbranch_execz .LBB12_328
; %bb.323:                              ;   in Loop: Header=BB12_282 Depth=1
	v_cmp_ne_u32_e32 vcc, 0, v20
	v_pk_mov_b32 v[18:19], 0, 0
	s_and_saveexec_b64 s[14:15], vcc
	s_cbranch_execz .LBB12_327
; %bb.324:                              ;   in Loop: Header=BB12_282 Depth=1
	s_mov_b64 s[16:17], 0
	v_pk_mov_b32 v[18:19], 0, 0
	s_mov_b64 s[18:19], 0
	s_mov_b64 s[20:21], 0
.LBB12_325:                             ;   Parent Loop BB12_282 Depth=1
                                        ; =>  This Inner Loop Header: Depth=2
	v_mov_b32_e32 v21, s21
	v_add_co_u32_e32 v22, vcc, s20, v6
	v_addc_co_u32_e32 v23, vcc, v7, v21, vcc
	flat_load_ubyte v21, v[22:23]
	s_add_u32 s20, s20, 1
	v_mov_b32_e32 v23, s22
	s_addc_u32 s21, s21, 0
	v_cmp_eq_u32_e32 vcc, s20, v20
	s_waitcnt vmcnt(0) lgkmcnt(0)
	v_and_b32_e32 v22, 0xffff, v21
	v_lshlrev_b64 v[22:23], s18, v[22:23]
	s_add_u32 s18, s18, 8
	s_addc_u32 s19, s19, 0
	v_or_b32_e32 v19, v23, v19
	s_or_b64 s[16:17], vcc, s[16:17]
	v_or_b32_e32 v18, v22, v18
	s_andn2_b64 exec, exec, s[16:17]
	s_cbranch_execnz .LBB12_325
; %bb.326:                              ;   in Loop: Header=BB12_282 Depth=1
	s_or_b64 exec, exec, s[16:17]
.LBB12_327:                             ;   in Loop: Header=BB12_282 Depth=1
	s_or_b64 exec, exec, s[14:15]
	s_mov_b32 s14, 0
                                        ; implicit-def: $vgpr20
.LBB12_328:                             ;   in Loop: Header=BB12_282 Depth=1
	s_or_saveexec_b64 s[4:5], s[4:5]
	v_mov_b32_e32 v22, s14
	s_xor_b64 exec, exec, s[4:5]
	s_cbranch_execz .LBB12_330
; %bb.329:                              ;   in Loop: Header=BB12_282 Depth=1
	flat_load_dwordx2 v[18:19], v[6:7]
	v_add_u32_e32 v22, -8, v20
	v_add_co_u32_e32 v6, vcc, 8, v6
	v_addc_co_u32_e32 v7, vcc, 0, v7, vcc
	s_waitcnt vmcnt(0) lgkmcnt(0)
	v_and_b32_e32 v20, 0xff, v19
	v_and_b32_e32 v21, 0xff00, v19
	;; [unrolled: 1-line block ×4, first 2 shown]
	v_or_b32_e32 v20, v20, v21
	v_or3_b32 v18, v18, 0, 0
	v_or3_b32 v19, v20, v23, v19
.LBB12_330:                             ;   in Loop: Header=BB12_282 Depth=1
	s_or_b64 exec, exec, s[4:5]
	v_cmp_gt_u32_e32 vcc, 8, v22
	s_and_saveexec_b64 s[4:5], vcc
	s_xor_b64 s[4:5], exec, s[4:5]
	s_cbranch_execz .LBB12_336
; %bb.331:                              ;   in Loop: Header=BB12_282 Depth=1
	v_cmp_ne_u32_e32 vcc, 0, v22
	v_pk_mov_b32 v[20:21], 0, 0
	s_and_saveexec_b64 s[14:15], vcc
	s_cbranch_execz .LBB12_335
; %bb.332:                              ;   in Loop: Header=BB12_282 Depth=1
	s_mov_b64 s[16:17], 0
	v_pk_mov_b32 v[20:21], 0, 0
	s_mov_b64 s[18:19], 0
.LBB12_333:                             ;   Parent Loop BB12_282 Depth=1
                                        ; =>  This Inner Loop Header: Depth=2
	flat_load_ubyte v23, v[6:7]
	v_mov_b32_e32 v25, s22
	v_add_co_u32_e32 v6, vcc, 1, v6
	v_add_u32_e32 v22, -1, v22
	v_addc_co_u32_e32 v7, vcc, 0, v7, vcc
	v_cmp_eq_u32_e32 vcc, 0, v22
	s_waitcnt vmcnt(0) lgkmcnt(0)
	v_and_b32_e32 v24, 0xffff, v23
	v_lshlrev_b64 v[24:25], s18, v[24:25]
	s_add_u32 s18, s18, 8
	s_addc_u32 s19, s19, 0
	v_or_b32_e32 v21, v25, v21
	s_or_b64 s[16:17], vcc, s[16:17]
	v_or_b32_e32 v20, v24, v20
	s_andn2_b64 exec, exec, s[16:17]
	s_cbranch_execnz .LBB12_333
; %bb.334:                              ;   in Loop: Header=BB12_282 Depth=1
	s_or_b64 exec, exec, s[16:17]
.LBB12_335:                             ;   in Loop: Header=BB12_282 Depth=1
	s_or_b64 exec, exec, s[14:15]
                                        ; implicit-def: $vgpr6_vgpr7
.LBB12_336:                             ;   in Loop: Header=BB12_282 Depth=1
	s_andn2_saveexec_b64 s[4:5], s[4:5]
	s_cbranch_execz .LBB12_338
; %bb.337:                              ;   in Loop: Header=BB12_282 Depth=1
	flat_load_dwordx2 v[6:7], v[6:7]
	s_waitcnt vmcnt(0) lgkmcnt(0)
	v_and_b32_e32 v20, 0xff, v7
	v_and_b32_e32 v21, 0xff00, v7
	;; [unrolled: 1-line block ×4, first 2 shown]
	v_or_b32_e32 v20, v20, v21
	v_or3_b32 v21, v20, v22, v7
	v_or3_b32 v20, v6, 0, 0
.LBB12_338:                             ;   in Loop: Header=BB12_282 Depth=1
	s_or_b64 exec, exec, s[4:5]
	v_readfirstlane_b32 s4, v37
	v_cmp_eq_u32_e64 s[4:5], s4, v37
	v_pk_mov_b32 v[6:7], 0, 0
	s_and_saveexec_b64 s[14:15], s[4:5]
	s_cbranch_execz .LBB12_344
; %bb.339:                              ;   in Loop: Header=BB12_282 Depth=1
	global_load_dwordx2 v[24:25], v31, s[10:11] offset:24 glc
	s_waitcnt vmcnt(0)
	buffer_invl2
	buffer_wbinvl1_vol
	global_load_dwordx2 v[6:7], v31, s[10:11] offset:40
	global_load_dwordx2 v[22:23], v31, s[10:11]
	s_waitcnt vmcnt(1)
	v_and_b32_e32 v6, v6, v24
	v_and_b32_e32 v7, v7, v25
	v_mul_lo_u32 v7, v7, 24
	v_mul_hi_u32 v29, v6, 24
	v_mul_lo_u32 v6, v6, 24
	v_add_u32_e32 v7, v29, v7
	s_waitcnt vmcnt(0)
	v_add_co_u32_e32 v6, vcc, v22, v6
	v_addc_co_u32_e32 v7, vcc, v23, v7, vcc
	global_load_dwordx2 v[22:23], v[6:7], off glc
	s_waitcnt vmcnt(0)
	global_atomic_cmpswap_x2 v[6:7], v31, v[22:25], s[10:11] offset:24 glc
	s_waitcnt vmcnt(0)
	buffer_invl2
	buffer_wbinvl1_vol
	v_cmp_ne_u64_e32 vcc, v[6:7], v[24:25]
	s_and_saveexec_b64 s[16:17], vcc
	s_cbranch_execz .LBB12_343
; %bb.340:                              ;   in Loop: Header=BB12_282 Depth=1
	s_mov_b64 s[18:19], 0
.LBB12_341:                             ;   Parent Loop BB12_282 Depth=1
                                        ; =>  This Inner Loop Header: Depth=2
	s_sleep 1
	global_load_dwordx2 v[22:23], v31, s[10:11] offset:40
	global_load_dwordx2 v[34:35], v31, s[10:11]
	v_pk_mov_b32 v[24:25], v[6:7], v[6:7] op_sel:[0,1]
	s_waitcnt vmcnt(1)
	v_and_b32_e32 v6, v22, v24
	s_waitcnt vmcnt(0)
	v_mad_u64_u32 v[6:7], s[20:21], v6, 24, v[34:35]
	v_and_b32_e32 v23, v23, v25
	v_mov_b32_e32 v22, v7
	v_mad_u64_u32 v[22:23], s[20:21], v23, 24, v[22:23]
	v_mov_b32_e32 v7, v22
	global_load_dwordx2 v[22:23], v[6:7], off glc
	s_waitcnt vmcnt(0)
	global_atomic_cmpswap_x2 v[6:7], v31, v[22:25], s[10:11] offset:24 glc
	s_waitcnt vmcnt(0)
	buffer_invl2
	buffer_wbinvl1_vol
	v_cmp_eq_u64_e32 vcc, v[6:7], v[24:25]
	s_or_b64 s[18:19], vcc, s[18:19]
	s_andn2_b64 exec, exec, s[18:19]
	s_cbranch_execnz .LBB12_341
; %bb.342:                              ;   in Loop: Header=BB12_282 Depth=1
	s_or_b64 exec, exec, s[18:19]
.LBB12_343:                             ;   in Loop: Header=BB12_282 Depth=1
	s_or_b64 exec, exec, s[16:17]
.LBB12_344:                             ;   in Loop: Header=BB12_282 Depth=1
	s_or_b64 exec, exec, s[14:15]
	global_load_dwordx2 v[34:35], v31, s[10:11] offset:40
	global_load_dwordx4 v[22:25], v31, s[10:11]
	v_readfirstlane_b32 s14, v6
	v_readfirstlane_b32 s15, v7
	s_mov_b64 s[16:17], exec
	s_waitcnt vmcnt(1)
	v_readfirstlane_b32 s18, v34
	v_readfirstlane_b32 s19, v35
	s_and_b64 s[18:19], s[14:15], s[18:19]
	s_mul_i32 s20, s19, 24
	s_mul_hi_u32 s21, s18, 24
	s_mul_i32 s24, s18, 24
	s_add_i32 s20, s21, s20
	v_mov_b32_e32 v6, s20
	s_waitcnt vmcnt(0)
	v_add_co_u32_e32 v34, vcc, s24, v22
	v_addc_co_u32_e32 v35, vcc, v23, v6, vcc
	s_and_saveexec_b64 s[20:21], s[4:5]
	s_cbranch_execz .LBB12_346
; %bb.345:                              ;   in Loop: Header=BB12_282 Depth=1
	v_pk_mov_b32 v[6:7], s[16:17], s[16:17] op_sel:[0,1]
	global_store_dwordx4 v[34:35], v[6:9], off offset:8
.LBB12_346:                             ;   in Loop: Header=BB12_282 Depth=1
	s_or_b64 exec, exec, s[20:21]
	s_lshl_b64 s[16:17], s[18:19], 12
	v_mov_b32_e32 v7, s17
	v_add_co_u32_e32 v6, vcc, s16, v24
	v_addc_co_u32_e32 v7, vcc, v25, v7, vcc
	v_or_b32_e32 v24, 0, v1
	v_cmp_lt_u64_e32 vcc, 56, v[26:27]
	v_or_b32_e32 v25, v0, v28
	v_cndmask_b32_e32 v1, v24, v1, vcc
	v_lshl_add_u32 v24, v32, 2, 28
	v_cndmask_b32_e32 v0, v25, v0, vcc
	v_and_b32_e32 v24, 0x1e0, v24
	v_and_or_b32 v0, v0, s23, v24
	v_readfirstlane_b32 s16, v6
	v_readfirstlane_b32 s17, v7
	s_nop 4
	global_store_dwordx4 v36, v[0:3], s[16:17]
	global_store_dwordx4 v36, v[10:13], s[16:17] offset:16
	global_store_dwordx4 v36, v[14:17], s[16:17] offset:32
	;; [unrolled: 1-line block ×3, first 2 shown]
	s_and_saveexec_b64 s[16:17], s[4:5]
	s_cbranch_execz .LBB12_354
; %bb.347:                              ;   in Loop: Header=BB12_282 Depth=1
	global_load_dwordx2 v[14:15], v31, s[10:11] offset:32 glc
	global_load_dwordx2 v[0:1], v31, s[10:11] offset:40
	v_mov_b32_e32 v12, s14
	v_mov_b32_e32 v13, s15
	s_waitcnt vmcnt(0)
	v_readfirstlane_b32 s18, v0
	v_readfirstlane_b32 s19, v1
	s_and_b64 s[18:19], s[18:19], s[14:15]
	s_mul_i32 s19, s19, 24
	s_mul_hi_u32 s20, s18, 24
	s_mul_i32 s18, s18, 24
	s_add_i32 s19, s20, s19
	v_mov_b32_e32 v0, s19
	v_add_co_u32_e32 v10, vcc, s18, v22
	v_addc_co_u32_e32 v11, vcc, v23, v0, vcc
	global_store_dwordx2 v[10:11], v[14:15], off
	buffer_wbl2
	s_waitcnt vmcnt(0)
	global_atomic_cmpswap_x2 v[2:3], v31, v[12:15], s[10:11] offset:32 glc
	s_waitcnt vmcnt(0)
	v_cmp_ne_u64_e32 vcc, v[2:3], v[14:15]
	s_and_saveexec_b64 s[18:19], vcc
	s_cbranch_execz .LBB12_350
; %bb.348:                              ;   in Loop: Header=BB12_282 Depth=1
	s_mov_b64 s[20:21], 0
.LBB12_349:                             ;   Parent Loop BB12_282 Depth=1
                                        ; =>  This Inner Loop Header: Depth=2
	s_sleep 1
	global_store_dwordx2 v[10:11], v[2:3], off
	v_mov_b32_e32 v0, s14
	v_mov_b32_e32 v1, s15
	buffer_wbl2
	s_waitcnt vmcnt(0)
	global_atomic_cmpswap_x2 v[0:1], v31, v[0:3], s[10:11] offset:32 glc
	s_waitcnt vmcnt(0)
	v_cmp_eq_u64_e32 vcc, v[0:1], v[2:3]
	s_or_b64 s[20:21], vcc, s[20:21]
	v_pk_mov_b32 v[2:3], v[0:1], v[0:1] op_sel:[0,1]
	s_andn2_b64 exec, exec, s[20:21]
	s_cbranch_execnz .LBB12_349
.LBB12_350:                             ;   in Loop: Header=BB12_282 Depth=1
	s_or_b64 exec, exec, s[18:19]
	global_load_dwordx2 v[0:1], v31, s[10:11] offset:16
	s_mov_b64 s[20:21], exec
	v_mbcnt_lo_u32_b32 v2, s20, 0
	v_mbcnt_hi_u32_b32 v2, s21, v2
	v_cmp_eq_u32_e32 vcc, 0, v2
	s_and_saveexec_b64 s[18:19], vcc
	s_cbranch_execz .LBB12_352
; %bb.351:                              ;   in Loop: Header=BB12_282 Depth=1
	s_bcnt1_i32_b64 s20, s[20:21]
	v_mov_b32_e32 v30, s20
	buffer_wbl2
	s_waitcnt vmcnt(0)
	global_atomic_add_x2 v[0:1], v[30:31], off offset:8
.LBB12_352:                             ;   in Loop: Header=BB12_282 Depth=1
	s_or_b64 exec, exec, s[18:19]
	s_waitcnt vmcnt(0)
	global_load_dwordx2 v[2:3], v[0:1], off offset:16
	s_waitcnt vmcnt(0)
	v_cmp_eq_u64_e32 vcc, 0, v[2:3]
	s_cbranch_vccnz .LBB12_354
; %bb.353:                              ;   in Loop: Header=BB12_282 Depth=1
	global_load_dword v30, v[0:1], off offset:24
	s_waitcnt vmcnt(0)
	v_and_b32_e32 v0, 0xffffff, v30
	v_readfirstlane_b32 m0, v0
	buffer_wbl2
	global_store_dwordx2 v[2:3], v[30:31], off
	s_sendmsg sendmsg(MSG_INTERRUPT)
.LBB12_354:                             ;   in Loop: Header=BB12_282 Depth=1
	s_or_b64 exec, exec, s[16:17]
	v_add_co_u32_e32 v0, vcc, v6, v36
	v_addc_co_u32_e32 v1, vcc, 0, v7, vcc
	s_branch .LBB12_358
.LBB12_355:                             ;   in Loop: Header=BB12_358 Depth=2
	s_or_b64 exec, exec, s[16:17]
	v_readfirstlane_b32 s16, v2
	s_cmp_eq_u32 s16, 0
	s_cbranch_scc1 .LBB12_357
; %bb.356:                              ;   in Loop: Header=BB12_358 Depth=2
	s_sleep 1
	s_cbranch_execnz .LBB12_358
	s_branch .LBB12_360
.LBB12_357:                             ;   in Loop: Header=BB12_282 Depth=1
	s_branch .LBB12_360
.LBB12_358:                             ;   Parent Loop BB12_282 Depth=1
                                        ; =>  This Inner Loop Header: Depth=2
	v_mov_b32_e32 v2, 1
	s_and_saveexec_b64 s[16:17], s[4:5]
	s_cbranch_execz .LBB12_355
; %bb.359:                              ;   in Loop: Header=BB12_358 Depth=2
	global_load_dword v2, v[34:35], off offset:20 glc
	s_waitcnt vmcnt(0)
	buffer_invl2
	buffer_wbinvl1_vol
	v_and_b32_e32 v2, 1, v2
	s_branch .LBB12_355
.LBB12_360:                             ;   in Loop: Header=BB12_282 Depth=1
	global_load_dwordx4 v[0:3], v[0:1], off
	s_and_saveexec_b64 s[16:17], s[4:5]
	s_cbranch_execz .LBB12_281
; %bb.361:                              ;   in Loop: Header=BB12_282 Depth=1
	global_load_dwordx2 v[2:3], v31, s[10:11] offset:40
	global_load_dwordx2 v[6:7], v31, s[10:11] offset:24 glc
	global_load_dwordx2 v[14:15], v31, s[10:11]
	v_mov_b32_e32 v11, s15
	s_waitcnt vmcnt(2)
	v_add_co_u32_e32 v13, vcc, 1, v2
	v_addc_co_u32_e32 v16, vcc, 0, v3, vcc
	v_add_co_u32_e32 v10, vcc, s14, v13
	v_addc_co_u32_e32 v11, vcc, v16, v11, vcc
	v_cmp_eq_u64_e32 vcc, 0, v[10:11]
	v_cndmask_b32_e32 v11, v11, v16, vcc
	v_cndmask_b32_e32 v10, v10, v13, vcc
	v_and_b32_e32 v3, v11, v3
	v_and_b32_e32 v2, v10, v2
	v_mul_lo_u32 v3, v3, 24
	v_mul_hi_u32 v13, v2, 24
	v_mul_lo_u32 v2, v2, 24
	v_add_u32_e32 v3, v13, v3
	s_waitcnt vmcnt(0)
	v_add_co_u32_e32 v2, vcc, v14, v2
	v_addc_co_u32_e32 v3, vcc, v15, v3, vcc
	v_mov_b32_e32 v12, v6
	global_store_dwordx2 v[2:3], v[6:7], off
	v_mov_b32_e32 v13, v7
	buffer_wbl2
	s_waitcnt vmcnt(0)
	global_atomic_cmpswap_x2 v[12:13], v31, v[10:13], s[10:11] offset:24 glc
	s_waitcnt vmcnt(0)
	v_cmp_ne_u64_e32 vcc, v[12:13], v[6:7]
	s_and_b64 exec, exec, vcc
	s_cbranch_execz .LBB12_281
; %bb.362:                              ;   in Loop: Header=BB12_282 Depth=1
	s_mov_b64 s[4:5], 0
.LBB12_363:                             ;   Parent Loop BB12_282 Depth=1
                                        ; =>  This Inner Loop Header: Depth=2
	s_sleep 1
	global_store_dwordx2 v[2:3], v[12:13], off
	buffer_wbl2
	s_waitcnt vmcnt(0)
	global_atomic_cmpswap_x2 v[6:7], v31, v[10:13], s[10:11] offset:24 glc
	s_waitcnt vmcnt(0)
	v_cmp_eq_u64_e32 vcc, v[6:7], v[12:13]
	s_or_b64 s[4:5], vcc, s[4:5]
	v_pk_mov_b32 v[12:13], v[6:7], v[6:7] op_sel:[0,1]
	s_andn2_b64 exec, exec, s[4:5]
	s_cbranch_execnz .LBB12_363
	s_branch .LBB12_281
.LBB12_364:
	s_or_b64 exec, exec, s[6:7]
                                        ; implicit-def: $vgpr36
                                        ; implicit-def: $vgpr37
.LBB12_365:
	s_andn2_saveexec_b64 s[6:7], s[12:13]
	s_cbranch_execz .LBB12_392
; %bb.366:
	v_readfirstlane_b32 s4, v37
	v_cmp_eq_u32_e64 s[4:5], s4, v37
	v_pk_mov_b32 v[8:9], 0, 0
	s_and_saveexec_b64 s[12:13], s[4:5]
	s_cbranch_execz .LBB12_372
; %bb.367:
	s_waitcnt vmcnt(0)
	v_mov_b32_e32 v2, 0
	global_load_dwordx2 v[6:7], v2, s[10:11] offset:24 glc
	s_waitcnt vmcnt(0)
	buffer_invl2
	buffer_wbinvl1_vol
	global_load_dwordx2 v[4:5], v2, s[10:11] offset:40
	global_load_dwordx2 v[8:9], v2, s[10:11]
	s_waitcnt vmcnt(1)
	v_and_b32_e32 v3, v4, v6
	v_and_b32_e32 v4, v5, v7
	v_mul_lo_u32 v4, v4, 24
	v_mul_hi_u32 v5, v3, 24
	v_mul_lo_u32 v3, v3, 24
	v_add_u32_e32 v5, v5, v4
	s_waitcnt vmcnt(0)
	v_add_co_u32_e32 v4, vcc, v8, v3
	v_addc_co_u32_e32 v5, vcc, v9, v5, vcc
	global_load_dwordx2 v[4:5], v[4:5], off glc
	s_waitcnt vmcnt(0)
	global_atomic_cmpswap_x2 v[8:9], v2, v[4:7], s[10:11] offset:24 glc
	s_waitcnt vmcnt(0)
	buffer_invl2
	buffer_wbinvl1_vol
	v_cmp_ne_u64_e32 vcc, v[8:9], v[6:7]
	s_and_saveexec_b64 s[14:15], vcc
	s_cbranch_execz .LBB12_371
; %bb.368:
	s_mov_b64 s[16:17], 0
.LBB12_369:                             ; =>This Inner Loop Header: Depth=1
	s_sleep 1
	global_load_dwordx2 v[4:5], v2, s[10:11] offset:40
	global_load_dwordx2 v[10:11], v2, s[10:11]
	v_pk_mov_b32 v[6:7], v[8:9], v[8:9] op_sel:[0,1]
	s_waitcnt vmcnt(1)
	v_and_b32_e32 v4, v4, v6
	v_and_b32_e32 v3, v5, v7
	s_waitcnt vmcnt(0)
	v_mad_u64_u32 v[4:5], s[18:19], v4, 24, v[10:11]
	v_mov_b32_e32 v8, v5
	v_mad_u64_u32 v[8:9], s[18:19], v3, 24, v[8:9]
	v_mov_b32_e32 v5, v8
	global_load_dwordx2 v[4:5], v[4:5], off glc
	s_waitcnt vmcnt(0)
	global_atomic_cmpswap_x2 v[8:9], v2, v[4:7], s[10:11] offset:24 glc
	s_waitcnt vmcnt(0)
	buffer_invl2
	buffer_wbinvl1_vol
	v_cmp_eq_u64_e32 vcc, v[8:9], v[6:7]
	s_or_b64 s[16:17], vcc, s[16:17]
	s_andn2_b64 exec, exec, s[16:17]
	s_cbranch_execnz .LBB12_369
; %bb.370:
	s_or_b64 exec, exec, s[16:17]
.LBB12_371:
	s_or_b64 exec, exec, s[14:15]
.LBB12_372:
	s_or_b64 exec, exec, s[12:13]
	s_waitcnt vmcnt(0)
	v_mov_b32_e32 v2, 0
	global_load_dwordx2 v[10:11], v2, s[10:11] offset:40
	global_load_dwordx4 v[4:7], v2, s[10:11]
	v_readfirstlane_b32 s12, v8
	v_readfirstlane_b32 s13, v9
	s_mov_b64 s[14:15], exec
	s_waitcnt vmcnt(1)
	v_readfirstlane_b32 s16, v10
	v_readfirstlane_b32 s17, v11
	s_and_b64 s[16:17], s[12:13], s[16:17]
	s_mul_i32 s18, s17, 24
	s_mul_hi_u32 s19, s16, 24
	s_mul_i32 s20, s16, 24
	s_add_i32 s18, s19, s18
	v_mov_b32_e32 v3, s18
	s_waitcnt vmcnt(0)
	v_add_co_u32_e32 v8, vcc, s20, v4
	v_addc_co_u32_e32 v9, vcc, v5, v3, vcc
	s_and_saveexec_b64 s[18:19], s[4:5]
	s_cbranch_execz .LBB12_374
; %bb.373:
	v_pk_mov_b32 v[10:11], s[14:15], s[14:15] op_sel:[0,1]
	v_mov_b32_e32 v12, 2
	v_mov_b32_e32 v13, 1
	global_store_dwordx4 v[8:9], v[10:13], off offset:8
.LBB12_374:
	s_or_b64 exec, exec, s[18:19]
	s_lshl_b64 s[14:15], s[16:17], 12
	v_mov_b32_e32 v3, s15
	v_add_co_u32_e32 v10, vcc, s14, v6
	v_addc_co_u32_e32 v11, vcc, v7, v3, vcc
	s_movk_i32 s14, 0xff1f
	s_mov_b32 s16, 0
	v_and_or_b32 v0, v0, s14, 32
	v_mov_b32_e32 v3, v2
	v_readfirstlane_b32 s14, v10
	v_readfirstlane_b32 s15, v11
	s_mov_b32 s17, s16
	v_add_co_u32_e32 v6, vcc, v10, v36
	s_mov_b32 s18, s16
	s_mov_b32 s19, s16
	s_nop 0
	global_store_dwordx4 v36, v[0:3], s[14:15]
	v_addc_co_u32_e32 v7, vcc, 0, v11, vcc
	v_pk_mov_b32 v[0:1], s[16:17], s[16:17] op_sel:[0,1]
	v_pk_mov_b32 v[2:3], s[18:19], s[18:19] op_sel:[0,1]
	global_store_dwordx4 v36, v[0:3], s[14:15] offset:16
	global_store_dwordx4 v36, v[0:3], s[14:15] offset:32
	;; [unrolled: 1-line block ×3, first 2 shown]
	s_and_saveexec_b64 s[14:15], s[4:5]
	s_cbranch_execz .LBB12_382
; %bb.375:
	v_mov_b32_e32 v10, 0
	global_load_dwordx2 v[14:15], v10, s[10:11] offset:32 glc
	global_load_dwordx2 v[0:1], v10, s[10:11] offset:40
	v_mov_b32_e32 v12, s12
	v_mov_b32_e32 v13, s13
	s_waitcnt vmcnt(0)
	v_readfirstlane_b32 s16, v0
	v_readfirstlane_b32 s17, v1
	s_and_b64 s[16:17], s[16:17], s[12:13]
	s_mul_i32 s17, s17, 24
	s_mul_hi_u32 s18, s16, 24
	s_mul_i32 s16, s16, 24
	s_add_i32 s17, s18, s17
	v_mov_b32_e32 v0, s17
	v_add_co_u32_e32 v4, vcc, s16, v4
	v_addc_co_u32_e32 v5, vcc, v5, v0, vcc
	global_store_dwordx2 v[4:5], v[14:15], off
	buffer_wbl2
	s_waitcnt vmcnt(0)
	global_atomic_cmpswap_x2 v[2:3], v10, v[12:15], s[10:11] offset:32 glc
	s_waitcnt vmcnt(0)
	v_cmp_ne_u64_e32 vcc, v[2:3], v[14:15]
	s_and_saveexec_b64 s[16:17], vcc
	s_cbranch_execz .LBB12_378
; %bb.376:
	s_mov_b64 s[18:19], 0
.LBB12_377:                             ; =>This Inner Loop Header: Depth=1
	s_sleep 1
	global_store_dwordx2 v[4:5], v[2:3], off
	v_mov_b32_e32 v0, s12
	v_mov_b32_e32 v1, s13
	buffer_wbl2
	s_waitcnt vmcnt(0)
	global_atomic_cmpswap_x2 v[0:1], v10, v[0:3], s[10:11] offset:32 glc
	s_waitcnt vmcnt(0)
	v_cmp_eq_u64_e32 vcc, v[0:1], v[2:3]
	s_or_b64 s[18:19], vcc, s[18:19]
	v_pk_mov_b32 v[2:3], v[0:1], v[0:1] op_sel:[0,1]
	s_andn2_b64 exec, exec, s[18:19]
	s_cbranch_execnz .LBB12_377
.LBB12_378:
	s_or_b64 exec, exec, s[16:17]
	v_mov_b32_e32 v3, 0
	global_load_dwordx2 v[0:1], v3, s[10:11] offset:16
	s_mov_b64 s[16:17], exec
	v_mbcnt_lo_u32_b32 v2, s16, 0
	v_mbcnt_hi_u32_b32 v2, s17, v2
	v_cmp_eq_u32_e32 vcc, 0, v2
	s_and_saveexec_b64 s[18:19], vcc
	s_cbranch_execz .LBB12_380
; %bb.379:
	s_bcnt1_i32_b64 s16, s[16:17]
	v_mov_b32_e32 v2, s16
	buffer_wbl2
	s_waitcnt vmcnt(0)
	global_atomic_add_x2 v[0:1], v[2:3], off offset:8
.LBB12_380:
	s_or_b64 exec, exec, s[18:19]
	s_waitcnt vmcnt(0)
	global_load_dwordx2 v[2:3], v[0:1], off offset:16
	s_waitcnt vmcnt(0)
	v_cmp_eq_u64_e32 vcc, 0, v[2:3]
	s_cbranch_vccnz .LBB12_382
; %bb.381:
	global_load_dword v0, v[0:1], off offset:24
	v_mov_b32_e32 v1, 0
	buffer_wbl2
	s_waitcnt vmcnt(0)
	global_store_dwordx2 v[2:3], v[0:1], off
	v_and_b32_e32 v0, 0xffffff, v0
	v_readfirstlane_b32 m0, v0
	s_sendmsg sendmsg(MSG_INTERRUPT)
.LBB12_382:
	s_or_b64 exec, exec, s[14:15]
	s_branch .LBB12_386
.LBB12_383:                             ;   in Loop: Header=BB12_386 Depth=1
	s_or_b64 exec, exec, s[14:15]
	v_readfirstlane_b32 s14, v0
	s_cmp_eq_u32 s14, 0
	s_cbranch_scc1 .LBB12_385
; %bb.384:                              ;   in Loop: Header=BB12_386 Depth=1
	s_sleep 1
	s_cbranch_execnz .LBB12_386
	s_branch .LBB12_388
.LBB12_385:
	s_branch .LBB12_388
.LBB12_386:                             ; =>This Inner Loop Header: Depth=1
	v_mov_b32_e32 v0, 1
	s_and_saveexec_b64 s[14:15], s[4:5]
	s_cbranch_execz .LBB12_383
; %bb.387:                              ;   in Loop: Header=BB12_386 Depth=1
	global_load_dword v0, v[8:9], off offset:20 glc
	s_waitcnt vmcnt(0)
	buffer_invl2
	buffer_wbinvl1_vol
	v_and_b32_e32 v0, 1, v0
	s_branch .LBB12_383
.LBB12_388:
	global_load_dwordx2 v[0:1], v[6:7], off
	s_and_saveexec_b64 s[14:15], s[4:5]
	s_cbranch_execz .LBB12_391
; %bb.389:
	v_mov_b32_e32 v8, 0
	global_load_dwordx2 v[6:7], v8, s[10:11] offset:40
	global_load_dwordx2 v[10:11], v8, s[10:11] offset:24 glc
	global_load_dwordx2 v[12:13], v8, s[10:11]
	v_mov_b32_e32 v3, s13
	s_mov_b64 s[4:5], 0
	s_waitcnt vmcnt(2)
	v_add_co_u32_e32 v5, vcc, 1, v6
	v_addc_co_u32_e32 v9, vcc, 0, v7, vcc
	v_add_co_u32_e32 v2, vcc, s12, v5
	v_addc_co_u32_e32 v3, vcc, v9, v3, vcc
	v_cmp_eq_u64_e32 vcc, 0, v[2:3]
	v_cndmask_b32_e32 v3, v3, v9, vcc
	v_cndmask_b32_e32 v2, v2, v5, vcc
	v_and_b32_e32 v5, v3, v7
	v_and_b32_e32 v6, v2, v6
	v_mul_lo_u32 v5, v5, 24
	v_mul_hi_u32 v7, v6, 24
	v_mul_lo_u32 v6, v6, 24
	v_add_u32_e32 v5, v7, v5
	s_waitcnt vmcnt(0)
	v_add_co_u32_e32 v6, vcc, v12, v6
	v_addc_co_u32_e32 v7, vcc, v13, v5, vcc
	v_mov_b32_e32 v4, v10
	global_store_dwordx2 v[6:7], v[10:11], off
	v_mov_b32_e32 v5, v11
	buffer_wbl2
	s_waitcnt vmcnt(0)
	global_atomic_cmpswap_x2 v[4:5], v8, v[2:5], s[10:11] offset:24 glc
	s_waitcnt vmcnt(0)
	v_cmp_ne_u64_e32 vcc, v[4:5], v[10:11]
	s_and_b64 exec, exec, vcc
	s_cbranch_execz .LBB12_391
.LBB12_390:                             ; =>This Inner Loop Header: Depth=1
	s_sleep 1
	global_store_dwordx2 v[6:7], v[4:5], off
	buffer_wbl2
	s_waitcnt vmcnt(0)
	global_atomic_cmpswap_x2 v[10:11], v8, v[2:5], s[10:11] offset:24 glc
	s_waitcnt vmcnt(0)
	v_cmp_eq_u64_e32 vcc, v[10:11], v[4:5]
	s_or_b64 s[4:5], vcc, s[4:5]
	v_pk_mov_b32 v[4:5], v[10:11], v[10:11] op_sel:[0,1]
	s_andn2_b64 exec, exec, s[4:5]
	s_cbranch_execnz .LBB12_390
.LBB12_391:
	s_or_b64 exec, exec, s[14:15]
.LBB12_392:
	s_or_b64 exec, exec, s[6:7]
	s_getpc_b64 s[4:5]
	s_add_u32 s4, s4, .str.3@rel32@lo+4
	s_addc_u32 s5, s5, .str.3@rel32@hi+12
	s_getpc_b64 s[6:7]
	s_add_u32 s6, s6, .str.3@rel32@lo+65
	s_addc_u32 s7, s7, .str.3@rel32@hi+73
	s_sub_i32 s10, s6, s4
	s_ashr_i32 s11, s10, 31
	s_waitcnt vmcnt(0)
	v_mov_b32_e32 v2, s4
	v_mov_b32_e32 v3, s5
	;; [unrolled: 1-line block ×5, first 2 shown]
	s_getpc_b64 s[6:7]
	s_add_u32 s6, s6, __ockl_fprintf_append_string_n@rel32@lo+4
	s_addc_u32 s7, s7, __ockl_fprintf_append_string_n@rel32@hi+12
	s_swappc_b64 s[30:31], s[6:7]
	s_trap 2
.Lfunc_end12:
	.size	__assert_fail, .Lfunc_end12-__assert_fail
                                        ; -- End function
	.section	.AMDGPU.csdata,"",@progbits
; Function info:
; codeLenInByte = 15360
; NumSgprs: 38
; NumVgprs: 41
; NumAgprs: 0
; TotalNumVgprs: 41
; ScratchSize: 64
; MemoryBound: 0
	.section	.text._ZN9rocsolver6v33100L14bdsqr_finalizeIffPfS2_S2_EEviiiiPT0_lS4_lT1_iilT2_iilT3_iilPiS8_S8_,"axG",@progbits,_ZN9rocsolver6v33100L14bdsqr_finalizeIffPfS2_S2_EEviiiiPT0_lS4_lT1_iilT2_iilT3_iilPiS8_S8_,comdat
	.globl	_ZN9rocsolver6v33100L14bdsqr_finalizeIffPfS2_S2_EEviiiiPT0_lS4_lT1_iilT2_iilT3_iilPiS8_S8_ ; -- Begin function _ZN9rocsolver6v33100L14bdsqr_finalizeIffPfS2_S2_EEviiiiPT0_lS4_lT1_iilT2_iilT3_iilPiS8_S8_
	.p2align	8
	.type	_ZN9rocsolver6v33100L14bdsqr_finalizeIffPfS2_S2_EEviiiiPT0_lS4_lT1_iilT2_iilT3_iilPiS8_S8_,@function
_ZN9rocsolver6v33100L14bdsqr_finalizeIffPfS2_S2_EEviiiiPT0_lS4_lT1_iilT2_iilT3_iilPiS8_S8_: ; @_ZN9rocsolver6v33100L14bdsqr_finalizeIffPfS2_S2_EEviiiiPT0_lS4_lT1_iilT2_iilT3_iilPiS8_S8_
; %bb.0:
	s_add_u32 flat_scratch_lo, s6, s10
	s_load_dwordx8 s[36:43], s[4:5], 0x70
	s_addc_u32 flat_scratch_hi, s7, 0
	s_add_u32 s0, s0, s10
	s_addc_u32 s1, s1, 0
	s_mov_b32 s12, s9
	s_ashr_i32 s13, s9, 31
	s_lshl_b64 s[26:27], s[12:13], 2
	s_waitcnt lgkmcnt(0)
	s_add_u32 s6, s42, s26
	s_addc_u32 s7, s43, s27
	s_load_dword s6, s[6:7], 0x8
	s_mov_b32 s32, 0
	s_waitcnt lgkmcnt(0)
	s_cmp_gt_i32 s6, 1
	s_cbranch_scc1 .LBB13_264
; %bb.1:
	s_load_dwordx2 s[6:7], s[4:5], 0x9c
	s_load_dwordx8 s[44:51], s[4:5], 0x30
	s_load_dwordx8 s[52:59], s[4:5], 0x10
	s_mov_b64 s[28:29], 0
	s_mov_b64 s[34:35], 0
	s_waitcnt lgkmcnt(0)
	s_and_b32 s7, s7, 0xffff
	s_cmp_eq_u64 s[44:45], 0
	s_cbranch_scc1 .LBB13_3
; %bb.2:
	s_mul_i32 s10, s12, s49
	s_mul_hi_u32 s11, s12, s48
	s_add_i32 s10, s11, s10
	s_mul_i32 s11, s13, s48
	s_add_i32 s11, s10, s11
	s_mul_i32 s10, s12, s48
	s_ashr_i32 s9, s46, 31
	s_lshl_b64 s[10:11], s[10:11], 2
	s_mov_b32 s8, s46
	s_add_u32 s10, s44, s10
	s_addc_u32 s11, s45, s11
	s_lshl_b64 s[8:9], s[8:9], 2
	s_add_u32 s34, s10, s8
	s_addc_u32 s35, s11, s9
.LBB13_3:
	s_load_dwordx2 s[42:43], s[4:5], 0x50
	s_load_dwordx4 s[8:11], s[4:5], 0x58
	s_cmp_eq_u64 s[50:51], 0
	s_cbranch_scc1 .LBB13_5
; %bb.4:
	s_waitcnt lgkmcnt(0)
	s_mul_i32 s9, s12, s9
	s_mul_hi_u32 s16, s12, s8
	s_add_i32 s9, s16, s9
	s_mul_i32 s16, s13, s8
	s_add_i32 s9, s9, s16
	s_mul_i32 s8, s12, s8
	s_ashr_i32 s15, s42, 31
	s_lshl_b64 s[8:9], s[8:9], 2
	s_mov_b32 s14, s42
	s_add_u32 s16, s50, s8
	s_addc_u32 s17, s51, s9
	s_lshl_b64 s[8:9], s[14:15], 2
	s_add_u32 s28, s16, s8
	s_addc_u32 s29, s17, s9
.LBB13_5:
	s_load_dwordx2 s[60:61], s[4:5], 0x68
	s_waitcnt lgkmcnt(0)
	s_cmp_eq_u64 s[10:11], 0
	s_mov_b64 s[44:45], 0
	s_cbranch_scc1 .LBB13_7
; %bb.6:
	s_mul_i32 s14, s12, s37
	s_mul_hi_u32 s15, s12, s36
	s_add_i32 s14, s15, s14
	s_mul_i32 s15, s13, s36
	s_add_i32 s15, s14, s15
	s_mul_i32 s14, s12, s36
	s_ashr_i32 s9, s60, 31
	s_lshl_b64 s[14:15], s[14:15], 2
	s_mov_b32 s8, s60
	s_add_u32 s10, s10, s14
	s_addc_u32 s11, s11, s15
	s_lshl_b64 s[8:9], s[8:9], 2
	s_add_u32 s44, s10, s8
	s_addc_u32 s45, s11, s9
.LBB13_7:
	s_mul_i32 s8, s12, s55
	s_mul_hi_u32 s9, s12, s54
	s_add_i32 s8, s9, s8
	s_mul_i32 s9, s13, s54
	s_add_i32 s9, s8, s9
	s_mul_i32 s8, s12, s54
	s_lshl_b64 s[54:55], s[8:9], 2
	s_add_u32 s36, s52, s54
	s_load_dwordx4 s[48:51], s[4:5], 0x0
	s_addc_u32 s37, s53, s55
	s_lshr_b32 s8, s6, 16
	s_and_b32 s42, s6, 0xffff
	v_bfe_u32 v43, v0, 10, 10
	v_bfe_u32 v44, v0, 20, 10
	s_mul_i32 s60, s8, s42
	v_and_b32_e32 v42, 0x3ff, v0
	v_mul_u32_u24_e32 v1, s42, v43
	v_mul_lo_u32 v0, s60, v44
	v_add3_u32 v41, v1, v42, v0
	s_and_b32 s6, s7, 0xffff
	s_mul_i32 s60, s60, s6
	s_waitcnt lgkmcnt(0)
	s_cmp_lt_i32 s48, 1
	v_cmp_eq_u32_e64 s[6:7], 0, v41
	s_cbranch_scc1 .LBB13_22
; %bb.8:
	s_mul_i32 s8, s12, s59
	s_mul_hi_u32 s9, s12, s58
	s_add_i32 s8, s9, s8
	s_mul_i32 s9, s13, s58
	s_add_i32 s9, s8, s9
	s_mul_i32 s8, s12, s58
	s_lshl_b64 s[8:9], s[8:9], 2
	s_add_u32 s13, s56, s8
	s_addc_u32 s22, s57, s9
	s_add_i32 s23, s48, -1
	s_cmp_lg_u32 s49, 0
	s_cselect_b64 s[10:11], -1, 0
	s_mov_b32 s15, 0
	v_cndmask_b32_e64 v0, 0, 1, s[10:11]
	v_cmp_gt_u32_e64 s[8:9], s49, v41
	s_ashr_i32 s24, s47, 31
	s_mov_b32 s25, s47
	v_mov_b32_e32 v2, 0
	v_cmp_ne_u32_e64 s[10:11], 1, v0
	v_mov_b32_e32 v3, s35
	s_mov_b32 s14, s15
	s_mov_b32 s46, s15
	s_branch .LBB13_11
.LBB13_9:                               ;   in Loop: Header=BB13_11 Depth=1
	s_or_b64 exec, exec, s[18:19]
.LBB13_10:                              ;   in Loop: Header=BB13_11 Depth=1
	s_add_i32 s14, s14, 1
	s_cmp_eq_u32 s14, s48
	s_cbranch_scc1 .LBB13_23
.LBB13_11:                              ; =>This Loop Header: Depth=1
                                        ;     Child Loop BB13_18 Depth 2
	s_cmp_ge_i32 s14, s23
	s_cbranch_scc1 .LBB13_14
; %bb.12:                               ;   in Loop: Header=BB13_11 Depth=1
	s_lshl_b64 s[16:17], s[14:15], 2
	s_add_u32 s16, s13, s16
	s_addc_u32 s17, s22, s17
	global_load_dword v0, v2, s[16:17]
	s_waitcnt vmcnt(0)
	v_cmp_eq_f32_e32 vcc, 0, v0
	s_cbranch_vccnz .LBB13_14
; %bb.13:                               ;   in Loop: Header=BB13_11 Depth=1
	s_add_i32 s46, s46, 1
.LBB13_14:                              ;   in Loop: Header=BB13_11 Depth=1
	s_lshl_b64 s[16:17], s[14:15], 2
	s_add_u32 s16, s36, s16
	s_addc_u32 s17, s37, s17
	global_load_dword v0, v2, s[16:17]
	s_waitcnt vmcnt(0)
	v_cmp_ngt_f32_e32 vcc, 0, v0
	s_cbranch_vccnz .LBB13_10
; %bb.15:                               ;   in Loop: Header=BB13_11 Depth=1
	s_and_b64 vcc, exec, s[10:11]
	s_cbranch_vccnz .LBB13_20
; %bb.16:                               ;   in Loop: Header=BB13_11 Depth=1
	s_and_saveexec_b64 s[18:19], s[8:9]
	s_cbranch_execz .LBB13_19
; %bb.17:                               ;   in Loop: Header=BB13_11 Depth=1
	s_mov_b64 s[20:21], 0
	v_pk_mov_b32 v[0:1], s[14:15], s[14:15] op_sel:[0,1]
	v_mov_b32_e32 v4, v41
.LBB13_18:                              ;   Parent Loop BB13_11 Depth=1
                                        ; =>  This Inner Loop Header: Depth=2
	v_mad_u64_u32 v[6:7], s[30:31], v4, s25, v[0:1]
	v_mov_b32_e32 v8, v7
	v_mad_u64_u32 v[8:9], s[30:31], v4, s24, v[8:9]
	v_mov_b32_e32 v7, v8
	v_lshlrev_b64 v[6:7], 2, v[6:7]
	v_add_co_u32_e32 v6, vcc, s34, v6
	v_addc_co_u32_e32 v7, vcc, v3, v7, vcc
	flat_load_dword v5, v[6:7]
	v_add_u32_e32 v4, s60, v4
	v_cmp_le_u32_e32 vcc, s49, v4
	s_or_b64 s[20:21], vcc, s[20:21]
	s_waitcnt vmcnt(0) lgkmcnt(0)
	v_xor_b32_e32 v5, 0x80000000, v5
	flat_store_dword v[6:7], v5
	s_andn2_b64 exec, exec, s[20:21]
	s_cbranch_execnz .LBB13_18
.LBB13_19:                              ;   in Loop: Header=BB13_11 Depth=1
	s_or_b64 exec, exec, s[18:19]
	s_waitcnt lgkmcnt(0)
	s_barrier
.LBB13_20:                              ;   in Loop: Header=BB13_11 Depth=1
	s_and_saveexec_b64 s[18:19], s[6:7]
	s_cbranch_execz .LBB13_9
; %bb.21:                               ;   in Loop: Header=BB13_11 Depth=1
	global_load_dword v0, v2, s[16:17]
	s_waitcnt vmcnt(0)
	v_xor_b32_e32 v0, 0x80000000, v0
	global_store_dword v2, v0, s[16:17]
	s_branch .LBB13_9
.LBB13_22:
	s_mov_b32 s46, 0
.LBB13_23:
	s_cmp_lt_i32 s46, 1
	s_mov_b64 s[6:7], -1
	s_cbranch_scc0 .LBB13_261
; %bb.24:
	s_mul_i32 s6, s12, s48
	s_lshl_b32 s6, s6, 1
	s_ashr_i32 s7, s6, 31
	s_lshl_b64 s[6:7], s[6:7], 2
	s_add_u32 s6, s40, s6
	s_addc_u32 s7, s41, s7
	s_cmp_lg_u64 s[40:41], 0
	s_cselect_b32 s57, s7, 0
	s_cselect_b32 s56, s6, 0
	s_mov_b64 s[62:63], 0
	s_cmp_lg_u64 s[56:57], 0
	s_barrier
	s_cbranch_scc0 .LBB13_40
; %bb.25:
	s_or_b32 s6, s50, s49
	s_or_b32 s8, s6, s51
	s_cmp_gt_i32 s48, 0
	s_cselect_b64 s[64:65], -1, 0
	s_cmp_lg_u64 s[52:53], 0
	s_cselect_b64 s[6:7], -1, 0
	s_and_b64 s[40:41], s[64:65], s[6:7]
	s_cmp_eq_u32 s8, 0
	s_cbranch_scc1 .LBB13_41
; %bb.26:
	s_mov_b64 s[66:67], -1
	s_mov_b64 s[58:59], 0
	s_and_b64 vcc, exec, s[40:41]
	s_cbranch_vccz .LBB13_119
; %bb.27:
	v_cmp_gt_u32_e32 vcc, s48, v41
	s_barrier
	s_and_saveexec_b64 s[6:7], vcc
	s_cbranch_execz .LBB13_30
; %bb.28:
	s_mov_b64 s[8:9], 0
	v_mov_b32_e32 v1, 0
	v_mov_b32_e32 v2, s57
	v_mov_b32_e32 v0, v41
.LBB13_29:                              ; =>This Inner Loop Header: Depth=1
	v_lshlrev_b64 v[4:5], 2, v[0:1]
	v_add_co_u32_e32 v4, vcc, s56, v4
	v_addc_co_u32_e32 v5, vcc, v2, v5, vcc
	global_store_dword v[4:5], v0, off
	v_add_u32_e32 v0, s60, v0
	v_cmp_le_u32_e32 vcc, s48, v0
	s_or_b64 s[8:9], vcc, s[8:9]
	s_andn2_b64 exec, exec, s[8:9]
	s_cbranch_execnz .LBB13_29
.LBB13_30:
	s_or_b64 exec, exec, s[6:7]
	v_or3_b32 v0, v43, v44, v42
	v_cmp_eq_u32_e32 vcc, 0, v0
	s_barrier
	s_and_saveexec_b64 s[6:7], vcc
	s_cbranch_execz .LBB13_103
; %bb.31:
	s_cmpk_lt_i32 s48, 0x2be
	s_cbranch_scc1 .LBB13_42
; %bb.32:
	s_add_u32 s8, s56, 0xaf4
	s_addc_u32 s9, s57, 0
	s_mov_b64 s[10:11], 0x2bd
	v_mov_b32_e32 v0, 0
	s_mov_b64 s[12:13], s[36:37]
	s_branch .LBB13_34
.LBB13_33:                              ;   in Loop: Header=BB13_34 Depth=1
	s_lshl_b64 s[14:15], s[14:15], 2
	s_add_u32 s16, s36, s14
	s_addc_u32 s17, s37, s15
	s_add_u32 s14, s56, s14
	s_addc_u32 s15, s57, s15
	;; [unrolled: 2-line block ×5, first 2 shown]
	s_cmp_eq_u32 s10, s48
	global_store_dword v0, v2, s[16:17]
	global_store_dword v0, v1, s[14:15]
	s_cbranch_scc1 .LBB13_42
.LBB13_34:                              ; =>This Loop Header: Depth=1
                                        ;     Child Loop BB13_36 Depth 2
	s_lshl_b64 s[14:15], s[10:11], 2
	s_and_b32 s15, s15, 3
	s_add_u32 s16, s36, s14
	s_addc_u32 s17, s37, s15
	s_add_u32 s14, s56, s14
	s_addc_u32 s15, s57, s15
	global_load_dword v2, v0, s[16:17]
	global_load_dword v1, v0, s[14:15]
	s_mov_b64 s[16:17], s[12:13]
	s_mov_b64 s[18:19], s[8:9]
	;; [unrolled: 1-line block ×3, first 2 shown]
	s_branch .LBB13_36
.LBB13_35:                              ;   in Loop: Header=BB13_36 Depth=2
	global_load_dword v4, v0, s[18:19] offset:-2804
	s_add_u32 s30, s18, 0xfffff50c
	s_addc_u32 s31, s19, -1
	s_add_u32 s22, s14, 0xfffffd43
	s_addc_u32 s23, s15, -1
	global_store_dword v0, v3, s[16:17] offset:2804
	s_add_u32 s16, s16, 0xfffff50c
	s_addc_u32 s17, s17, -1
	s_cmpk_lt_i32 s14, 0x57a
	s_mov_b64 s[20:21], 0
	s_mov_b64 s[14:15], s[22:23]
	s_cselect_b64 s[24:25], -1, 0
	s_waitcnt vmcnt(1)
	global_store_dword v0, v4, s[18:19]
	s_mov_b64 s[18:19], s[30:31]
	s_andn2_b64 vcc, exec, s[24:25]
	s_cbranch_vccz .LBB13_38
.LBB13_36:                              ;   Parent Loop BB13_34 Depth=1
                                        ; =>  This Inner Loop Header: Depth=2
	global_load_dword v3, v0, s[16:17]
	s_mov_b64 s[20:21], -1
	s_waitcnt vmcnt(0)
	v_cmp_nlt_f32_e32 vcc, v3, v2
	s_cbranch_vccz .LBB13_35
; %bb.37:                               ;   in Loop: Header=BB13_34 Depth=1
                                        ; implicit-def: $sgpr18_sgpr19
                                        ; implicit-def: $sgpr16_sgpr17
                                        ; implicit-def: $sgpr22_sgpr23
.LBB13_38:                              ;   in Loop: Header=BB13_34 Depth=1
	s_andn2_b64 vcc, exec, s[20:21]
	s_cbranch_vccz .LBB13_33
; %bb.39:                               ;   in Loop: Header=BB13_34 Depth=1
	s_bfe_i64 s[14:15], s[22:23], 0x200000
	s_branch .LBB13_33
.LBB13_40:
	s_branch .LBB13_237
.LBB13_41:
	s_mov_b64 s[58:59], 0
	s_cbranch_execnz .LBB13_144
	s_branch .LBB13_232
.LBB13_42:
	s_cmpk_lt_i32 s48, 0x12e
	s_cbranch_scc1 .LBB13_51
; %bb.43:
	s_add_u32 s8, s56, 0x4b4
	s_addc_u32 s9, s57, 0
	s_mov_b64 s[10:11], 0x12d
	v_mov_b32_e32 v0, 0
	s_mov_b64 s[12:13], s[36:37]
	s_branch .LBB13_45
.LBB13_44:                              ;   in Loop: Header=BB13_45 Depth=1
	s_lshl_b64 s[14:15], s[14:15], 2
	s_add_u32 s16, s36, s14
	s_addc_u32 s17, s37, s15
	s_add_u32 s14, s56, s14
	s_addc_u32 s15, s57, s15
	;; [unrolled: 2-line block ×5, first 2 shown]
	s_cmp_lg_u32 s10, s48
	global_store_dword v0, v2, s[16:17]
	global_store_dword v0, v1, s[14:15]
	s_cbranch_scc0 .LBB13_51
.LBB13_45:                              ; =>This Loop Header: Depth=1
                                        ;     Child Loop BB13_47 Depth 2
	s_lshl_b64 s[14:15], s[10:11], 2
	s_and_b32 s15, s15, 3
	s_add_u32 s16, s36, s14
	s_addc_u32 s17, s37, s15
	s_add_u32 s14, s56, s14
	s_addc_u32 s15, s57, s15
	global_load_dword v2, v0, s[16:17]
	global_load_dword v1, v0, s[14:15]
	s_mov_b64 s[16:17], s[12:13]
	s_mov_b64 s[18:19], s[8:9]
	;; [unrolled: 1-line block ×3, first 2 shown]
	s_branch .LBB13_47
.LBB13_46:                              ;   in Loop: Header=BB13_47 Depth=2
	global_load_dword v4, v0, s[18:19] offset:-1204
	s_add_u32 s30, s18, 0xfffffb4c
	s_addc_u32 s31, s19, -1
	s_add_u32 s22, s14, 0xfffffed3
	s_addc_u32 s23, s15, -1
	global_store_dword v0, v3, s[16:17] offset:1204
	s_add_u32 s16, s16, 0xfffffb4c
	s_addc_u32 s17, s17, -1
	s_cmpk_lt_i32 s14, 0x25a
	s_mov_b64 s[20:21], 0
	s_mov_b64 s[14:15], s[22:23]
	s_cselect_b64 s[24:25], -1, 0
	s_waitcnt vmcnt(1)
	global_store_dword v0, v4, s[18:19]
	s_mov_b64 s[18:19], s[30:31]
	s_andn2_b64 vcc, exec, s[24:25]
	s_cbranch_vccz .LBB13_49
.LBB13_47:                              ;   Parent Loop BB13_45 Depth=1
                                        ; =>  This Inner Loop Header: Depth=2
	global_load_dword v3, v0, s[16:17]
	s_mov_b64 s[20:21], -1
	s_waitcnt vmcnt(0)
	v_cmp_nlt_f32_e32 vcc, v3, v2
	s_cbranch_vccz .LBB13_46
; %bb.48:                               ;   in Loop: Header=BB13_45 Depth=1
                                        ; implicit-def: $sgpr18_sgpr19
                                        ; implicit-def: $sgpr16_sgpr17
                                        ; implicit-def: $sgpr22_sgpr23
.LBB13_49:                              ;   in Loop: Header=BB13_45 Depth=1
	s_andn2_b64 vcc, exec, s[20:21]
	s_cbranch_vccz .LBB13_44
; %bb.50:                               ;   in Loop: Header=BB13_45 Depth=1
	s_bfe_i64 s[14:15], s[22:23], 0x200000
	s_branch .LBB13_44
.LBB13_51:
	s_cmpk_lt_i32 s48, 0x85
	s_cbranch_scc1 .LBB13_60
; %bb.52:
	s_add_u32 s8, s56, 0x210
	s_addc_u32 s9, s57, 0
	s_mov_b64 s[10:11], 0x84
	v_mov_b32_e32 v0, 0
	s_mov_b64 s[12:13], s[36:37]
	s_branch .LBB13_54
.LBB13_53:                              ;   in Loop: Header=BB13_54 Depth=1
	s_lshl_b64 s[14:15], s[14:15], 2
	s_add_u32 s16, s36, s14
	s_addc_u32 s17, s37, s15
	s_add_u32 s14, s56, s14
	s_addc_u32 s15, s57, s15
	;; [unrolled: 2-line block ×5, first 2 shown]
	s_cmp_lg_u32 s10, s48
	global_store_dword v0, v2, s[16:17]
	global_store_dword v0, v1, s[14:15]
	s_cbranch_scc0 .LBB13_60
.LBB13_54:                              ; =>This Loop Header: Depth=1
                                        ;     Child Loop BB13_56 Depth 2
	s_lshl_b64 s[14:15], s[10:11], 2
	s_and_b32 s15, s15, 3
	s_add_u32 s16, s36, s14
	s_addc_u32 s17, s37, s15
	s_add_u32 s14, s56, s14
	s_addc_u32 s15, s57, s15
	global_load_dword v2, v0, s[16:17]
	global_load_dword v1, v0, s[14:15]
	s_mov_b64 s[16:17], s[12:13]
	s_mov_b64 s[18:19], s[8:9]
	s_mov_b64 s[14:15], s[10:11]
	s_branch .LBB13_56
.LBB13_55:                              ;   in Loop: Header=BB13_56 Depth=2
	global_load_dword v4, v0, s[18:19] offset:-528
	s_add_u32 s30, s18, 0xfffffdf0
	s_addc_u32 s31, s19, -1
	s_add_u32 s22, s14, 0xffffff7c
	s_addc_u32 s23, s15, -1
	global_store_dword v0, v3, s[16:17] offset:528
	s_add_u32 s16, s16, 0xfffffdf0
	s_addc_u32 s17, s17, -1
	s_cmpk_lt_i32 s14, 0x108
	s_mov_b64 s[20:21], 0
	s_mov_b64 s[14:15], s[22:23]
	s_cselect_b64 s[24:25], -1, 0
	s_waitcnt vmcnt(1)
	global_store_dword v0, v4, s[18:19]
	s_mov_b64 s[18:19], s[30:31]
	s_andn2_b64 vcc, exec, s[24:25]
	s_cbranch_vccz .LBB13_58
.LBB13_56:                              ;   Parent Loop BB13_54 Depth=1
                                        ; =>  This Inner Loop Header: Depth=2
	global_load_dword v3, v0, s[16:17]
	s_mov_b64 s[20:21], -1
	s_waitcnt vmcnt(0)
	v_cmp_nlt_f32_e32 vcc, v3, v2
	s_cbranch_vccz .LBB13_55
; %bb.57:                               ;   in Loop: Header=BB13_54 Depth=1
                                        ; implicit-def: $sgpr18_sgpr19
                                        ; implicit-def: $sgpr16_sgpr17
                                        ; implicit-def: $sgpr22_sgpr23
.LBB13_58:                              ;   in Loop: Header=BB13_54 Depth=1
	s_andn2_b64 vcc, exec, s[20:21]
	s_cbranch_vccz .LBB13_53
; %bb.59:                               ;   in Loop: Header=BB13_54 Depth=1
	s_bfe_i64 s[14:15], s[22:23], 0x200000
	s_branch .LBB13_53
.LBB13_60:
	s_cmp_lt_i32 s48, 58
	s_cbranch_scc1 .LBB13_69
; %bb.61:
	s_add_u32 s8, s56, 0xe4
	s_addc_u32 s9, s57, 0
	s_mov_b64 s[10:11], 57
	v_mov_b32_e32 v0, 0
	s_mov_b64 s[12:13], s[36:37]
	s_branch .LBB13_63
.LBB13_62:                              ;   in Loop: Header=BB13_63 Depth=1
	s_lshl_b64 s[14:15], s[14:15], 2
	s_add_u32 s16, s36, s14
	s_addc_u32 s17, s37, s15
	s_add_u32 s14, s56, s14
	s_addc_u32 s15, s57, s15
	;; [unrolled: 2-line block ×5, first 2 shown]
	s_cmp_lg_u32 s10, s48
	global_store_dword v0, v2, s[16:17]
	global_store_dword v0, v1, s[14:15]
	s_cbranch_scc0 .LBB13_69
.LBB13_63:                              ; =>This Loop Header: Depth=1
                                        ;     Child Loop BB13_65 Depth 2
	s_lshl_b64 s[14:15], s[10:11], 2
	s_and_b32 s15, s15, 3
	s_add_u32 s16, s36, s14
	s_addc_u32 s17, s37, s15
	s_add_u32 s14, s56, s14
	s_addc_u32 s15, s57, s15
	global_load_dword v2, v0, s[16:17]
	global_load_dword v1, v0, s[14:15]
	s_mov_b64 s[16:17], s[12:13]
	s_mov_b64 s[18:19], s[8:9]
	;; [unrolled: 1-line block ×3, first 2 shown]
	s_branch .LBB13_65
.LBB13_64:                              ;   in Loop: Header=BB13_65 Depth=2
	global_load_dword v4, v0, s[18:19] offset:-228
	s_add_u32 s30, s18, 0xffffff1c
	s_addc_u32 s31, s19, -1
	s_add_u32 s22, s14, 0xffffffc7
	s_addc_u32 s23, s15, -1
	global_store_dword v0, v3, s[16:17] offset:228
	s_add_u32 s16, s16, 0xffffff1c
	s_addc_u32 s17, s17, -1
	s_cmpk_lt_i32 s14, 0x72
	s_mov_b64 s[20:21], 0
	s_mov_b64 s[14:15], s[22:23]
	s_cselect_b64 s[24:25], -1, 0
	s_waitcnt vmcnt(1)
	global_store_dword v0, v4, s[18:19]
	s_mov_b64 s[18:19], s[30:31]
	s_andn2_b64 vcc, exec, s[24:25]
	s_cbranch_vccz .LBB13_67
.LBB13_65:                              ;   Parent Loop BB13_63 Depth=1
                                        ; =>  This Inner Loop Header: Depth=2
	global_load_dword v3, v0, s[16:17]
	s_mov_b64 s[20:21], -1
	s_waitcnt vmcnt(0)
	v_cmp_nlt_f32_e32 vcc, v3, v2
	s_cbranch_vccz .LBB13_64
; %bb.66:                               ;   in Loop: Header=BB13_63 Depth=1
                                        ; implicit-def: $sgpr18_sgpr19
                                        ; implicit-def: $sgpr16_sgpr17
                                        ; implicit-def: $sgpr22_sgpr23
.LBB13_67:                              ;   in Loop: Header=BB13_63 Depth=1
	s_andn2_b64 vcc, exec, s[20:21]
	s_cbranch_vccz .LBB13_62
; %bb.68:                               ;   in Loop: Header=BB13_63 Depth=1
	s_bfe_i64 s[14:15], s[22:23], 0x200000
	s_branch .LBB13_62
.LBB13_69:
	s_cmp_lt_i32 s48, 24
	s_cbranch_scc1 .LBB13_78
; %bb.70:
	s_add_u32 s8, s56, 0x5c
	s_addc_u32 s9, s57, 0
	s_mov_b64 s[10:11], 23
	v_mov_b32_e32 v0, 0
	s_mov_b64 s[12:13], s[36:37]
	s_branch .LBB13_72
.LBB13_71:                              ;   in Loop: Header=BB13_72 Depth=1
	s_lshl_b64 s[14:15], s[14:15], 2
	s_add_u32 s16, s36, s14
	s_addc_u32 s17, s37, s15
	s_add_u32 s14, s56, s14
	s_addc_u32 s15, s57, s15
	;; [unrolled: 2-line block ×5, first 2 shown]
	s_cmp_lg_u32 s10, s48
	global_store_dword v0, v2, s[16:17]
	global_store_dword v0, v1, s[14:15]
	s_cbranch_scc0 .LBB13_78
.LBB13_72:                              ; =>This Loop Header: Depth=1
                                        ;     Child Loop BB13_74 Depth 2
	s_lshl_b64 s[14:15], s[10:11], 2
	s_and_b32 s15, s15, 3
	s_add_u32 s16, s36, s14
	s_addc_u32 s17, s37, s15
	s_add_u32 s14, s56, s14
	s_addc_u32 s15, s57, s15
	global_load_dword v2, v0, s[16:17]
	global_load_dword v1, v0, s[14:15]
	s_mov_b64 s[16:17], s[12:13]
	s_mov_b64 s[18:19], s[8:9]
	;; [unrolled: 1-line block ×3, first 2 shown]
	s_branch .LBB13_74
.LBB13_73:                              ;   in Loop: Header=BB13_74 Depth=2
	global_load_dword v4, v0, s[18:19] offset:-92
	s_add_u32 s30, s18, 0xffffffa4
	s_addc_u32 s31, s19, -1
	s_add_u32 s22, s14, 0xffffffe9
	s_addc_u32 s23, s15, -1
	global_store_dword v0, v3, s[16:17] offset:92
	s_add_u32 s16, s16, 0xffffffa4
	s_addc_u32 s17, s17, -1
	s_cmp_lt_i32 s14, 46
	s_mov_b64 s[20:21], 0
	s_mov_b64 s[14:15], s[22:23]
	s_cselect_b64 s[24:25], -1, 0
	s_waitcnt vmcnt(1)
	global_store_dword v0, v4, s[18:19]
	s_mov_b64 s[18:19], s[30:31]
	s_andn2_b64 vcc, exec, s[24:25]
	s_cbranch_vccz .LBB13_76
.LBB13_74:                              ;   Parent Loop BB13_72 Depth=1
                                        ; =>  This Inner Loop Header: Depth=2
	global_load_dword v3, v0, s[16:17]
	s_mov_b64 s[20:21], -1
	s_waitcnt vmcnt(0)
	v_cmp_nlt_f32_e32 vcc, v3, v2
	s_cbranch_vccz .LBB13_73
; %bb.75:                               ;   in Loop: Header=BB13_72 Depth=1
                                        ; implicit-def: $sgpr18_sgpr19
                                        ; implicit-def: $sgpr16_sgpr17
                                        ; implicit-def: $sgpr22_sgpr23
.LBB13_76:                              ;   in Loop: Header=BB13_72 Depth=1
	s_andn2_b64 vcc, exec, s[20:21]
	s_cbranch_vccz .LBB13_71
; %bb.77:                               ;   in Loop: Header=BB13_72 Depth=1
	s_bfe_i64 s[14:15], s[22:23], 0x200000
	s_branch .LBB13_71
.LBB13_78:
	s_cmp_lt_i32 s48, 11
	s_cbranch_scc1 .LBB13_87
; %bb.79:
	s_add_u32 s8, s56, 40
	s_addc_u32 s9, s57, 0
	s_mov_b64 s[10:11], 10
	v_mov_b32_e32 v0, 0
	s_mov_b64 s[12:13], s[36:37]
	s_branch .LBB13_81
.LBB13_80:                              ;   in Loop: Header=BB13_81 Depth=1
	s_lshl_b64 s[14:15], s[14:15], 2
	s_add_u32 s16, s36, s14
	s_addc_u32 s17, s37, s15
	s_add_u32 s14, s56, s14
	s_addc_u32 s15, s57, s15
	;; [unrolled: 2-line block ×5, first 2 shown]
	s_cmp_lg_u32 s10, s48
	global_store_dword v0, v2, s[16:17]
	global_store_dword v0, v1, s[14:15]
	s_cbranch_scc0 .LBB13_87
.LBB13_81:                              ; =>This Loop Header: Depth=1
                                        ;     Child Loop BB13_83 Depth 2
	s_lshl_b64 s[14:15], s[10:11], 2
	s_and_b32 s15, s15, 3
	s_add_u32 s16, s36, s14
	s_addc_u32 s17, s37, s15
	s_add_u32 s14, s56, s14
	s_addc_u32 s15, s57, s15
	global_load_dword v2, v0, s[16:17]
	global_load_dword v1, v0, s[14:15]
	s_mov_b64 s[16:17], s[12:13]
	s_mov_b64 s[18:19], s[8:9]
	;; [unrolled: 1-line block ×3, first 2 shown]
	s_branch .LBB13_83
.LBB13_82:                              ;   in Loop: Header=BB13_83 Depth=2
	global_load_dword v4, v0, s[18:19] offset:-40
	s_add_u32 s30, s18, 0xffffffd8
	s_addc_u32 s31, s19, -1
	s_add_u32 s22, s14, -10
	s_addc_u32 s23, s15, -1
	global_store_dword v0, v3, s[16:17] offset:40
	s_add_u32 s16, s16, 0xffffffd8
	s_addc_u32 s17, s17, -1
	s_cmp_lt_i32 s14, 20
	s_mov_b64 s[20:21], 0
	s_mov_b64 s[14:15], s[22:23]
	s_cselect_b64 s[24:25], -1, 0
	s_waitcnt vmcnt(1)
	global_store_dword v0, v4, s[18:19]
	s_mov_b64 s[18:19], s[30:31]
	s_andn2_b64 vcc, exec, s[24:25]
	s_cbranch_vccz .LBB13_85
.LBB13_83:                              ;   Parent Loop BB13_81 Depth=1
                                        ; =>  This Inner Loop Header: Depth=2
	global_load_dword v3, v0, s[16:17]
	s_mov_b64 s[20:21], -1
	s_waitcnt vmcnt(0)
	v_cmp_nlt_f32_e32 vcc, v3, v2
	s_cbranch_vccz .LBB13_82
; %bb.84:                               ;   in Loop: Header=BB13_81 Depth=1
                                        ; implicit-def: $sgpr18_sgpr19
                                        ; implicit-def: $sgpr16_sgpr17
                                        ; implicit-def: $sgpr22_sgpr23
.LBB13_85:                              ;   in Loop: Header=BB13_81 Depth=1
	s_andn2_b64 vcc, exec, s[20:21]
	s_cbranch_vccz .LBB13_80
; %bb.86:                               ;   in Loop: Header=BB13_81 Depth=1
	s_bfe_i64 s[14:15], s[22:23], 0x200000
	s_branch .LBB13_80
.LBB13_87:
	s_cmp_lt_i32 s48, 5
	s_cbranch_scc1 .LBB13_96
; %bb.88:
	s_add_u32 s8, s56, 16
	s_addc_u32 s9, s57, 0
	s_add_u32 s10, s54, s52
	s_addc_u32 s11, s55, s53
	;; [unrolled: 2-line block ×3, first 2 shown]
	s_mov_b64 s[12:13], 4
	v_mov_b32_e32 v0, 0
	s_branch .LBB13_90
.LBB13_89:                              ;   in Loop: Header=BB13_90 Depth=1
	s_lshl_b64 s[14:15], s[14:15], 2
	s_add_u32 s16, s36, s14
	s_addc_u32 s17, s37, s15
	s_add_u32 s14, s56, s14
	s_addc_u32 s15, s57, s15
	;; [unrolled: 2-line block ×5, first 2 shown]
	s_cmp_lg_u32 s12, s48
	global_store_dword v0, v2, s[16:17]
	global_store_dword v0, v1, s[14:15]
	s_cbranch_scc0 .LBB13_96
.LBB13_90:                              ; =>This Loop Header: Depth=1
                                        ;     Child Loop BB13_92 Depth 2
	s_lshl_b64 s[14:15], s[12:13], 2
	s_and_b32 s15, s15, 3
	s_add_u32 s16, s36, s14
	s_addc_u32 s17, s37, s15
	s_add_u32 s14, s56, s14
	s_addc_u32 s15, s57, s15
	global_load_dword v2, v0, s[16:17]
	global_load_dword v1, v0, s[14:15]
	s_mov_b64 s[18:19], s[10:11]
	s_mov_b64 s[16:17], s[8:9]
	;; [unrolled: 1-line block ×3, first 2 shown]
	s_branch .LBB13_92
.LBB13_91:                              ;   in Loop: Header=BB13_92 Depth=2
	global_load_dword v4, v0, s[16:17] offset:-16
	s_mov_b64 s[20:21], 0
	global_store_dword v0, v3, s[18:19]
	s_add_u32 s18, s16, -16
	s_addc_u32 s19, s17, -1
	s_add_u32 s22, s14, -4
	s_addc_u32 s23, s15, -1
	s_cmp_lt_i32 s14, 8
	s_mov_b64 s[14:15], s[22:23]
	s_cselect_b64 s[30:31], -1, 0
	s_waitcnt vmcnt(1)
	global_store_dword v0, v4, s[16:17]
	s_mov_b64 s[16:17], s[18:19]
	s_mov_b64 s[18:19], s[24:25]
	s_andn2_b64 vcc, exec, s[30:31]
	s_cbranch_vccz .LBB13_94
.LBB13_92:                              ;   Parent Loop BB13_90 Depth=1
                                        ; =>  This Inner Loop Header: Depth=2
	global_load_dword v3, v0, s[18:19] offset:-16
	s_add_u32 s24, s18, -16
	s_addc_u32 s25, s19, -1
	s_mov_b64 s[20:21], -1
	s_waitcnt vmcnt(0)
	v_cmp_nlt_f32_e32 vcc, v3, v2
	s_cbranch_vccz .LBB13_91
; %bb.93:                               ;   in Loop: Header=BB13_90 Depth=1
                                        ; implicit-def: $sgpr16_sgpr17
                                        ; implicit-def: $sgpr18_sgpr19
                                        ; implicit-def: $sgpr22_sgpr23
.LBB13_94:                              ;   in Loop: Header=BB13_90 Depth=1
	s_andn2_b64 vcc, exec, s[20:21]
	s_cbranch_vccz .LBB13_89
; %bb.95:                               ;   in Loop: Header=BB13_90 Depth=1
	s_bfe_i64 s[14:15], s[22:23], 0x200000
	s_branch .LBB13_89
.LBB13_96:
	s_cmp_lt_i32 s48, 2
	s_cbranch_scc1 .LBB13_103
; %bb.97:
	s_add_u32 s8, s56, 4
	s_addc_u32 s9, s57, 0
	s_add_u32 s10, s54, s52
	s_addc_u32 s11, s55, s53
	;; [unrolled: 2-line block ×3, first 2 shown]
	s_mov_b64 s[12:13], 1
	v_mov_b32_e32 v0, 0
	s_branch .LBB13_99
.LBB13_98:                              ;   in Loop: Header=BB13_99 Depth=1
	s_lshl_b64 s[14:15], s[22:23], 2
	s_add_u32 s16, s36, s14
	s_addc_u32 s17, s37, s15
	s_add_u32 s14, s56, s14
	s_addc_u32 s15, s57, s15
	;; [unrolled: 2-line block ×5, first 2 shown]
	s_cmp_eq_u32 s12, s48
	global_store_dword v0, v2, s[16:17]
	global_store_dword v0, v1, s[14:15]
	s_cbranch_scc1 .LBB13_103
.LBB13_99:                              ; =>This Loop Header: Depth=1
                                        ;     Child Loop BB13_101 Depth 2
	s_lshl_b64 s[14:15], s[12:13], 2
	s_and_b32 s15, s15, 3
	s_add_u32 s16, s36, s14
	s_addc_u32 s17, s37, s15
	s_add_u32 s14, s56, s14
	s_addc_u32 s15, s57, s15
	global_load_dword v2, v0, s[16:17]
	global_load_dword v1, v0, s[14:15]
	s_mov_b64 s[18:19], s[10:11]
	s_mov_b64 s[14:15], s[8:9]
	;; [unrolled: 1-line block ×3, first 2 shown]
	s_branch .LBB13_101
.LBB13_100:                             ;   in Loop: Header=BB13_101 Depth=2
	global_load_dword v4, v0, s[14:15] offset:-4
	s_mov_b64 s[22:23], 0
	global_store_dword v0, v3, s[18:19]
	s_add_u32 s18, s14, -4
	s_addc_u32 s19, s15, -1
	s_add_u32 s24, s16, -1
	s_addc_u32 s25, s17, -1
	s_cmp_lt_i32 s16, 2
	s_mov_b64 s[16:17], s[24:25]
	s_cselect_b64 s[24:25], -1, 0
	s_waitcnt vmcnt(1)
	global_store_dword v0, v4, s[14:15]
	s_mov_b64 s[14:15], s[18:19]
	s_mov_b64 s[18:19], s[20:21]
	s_andn2_b64 vcc, exec, s[24:25]
	s_cbranch_vccz .LBB13_98
.LBB13_101:                             ;   Parent Loop BB13_99 Depth=1
                                        ; =>  This Inner Loop Header: Depth=2
	global_load_dword v3, v0, s[18:19] offset:-4
	s_add_u32 s20, s18, -4
	s_addc_u32 s21, s19, -1
	s_mov_b64 s[24:25], -1
	s_waitcnt vmcnt(0)
	v_cmp_nlt_f32_e32 vcc, v3, v2
	s_cbranch_vccz .LBB13_100
; %bb.102:                              ;   in Loop: Header=BB13_101 Depth=2
                                        ; implicit-def: $sgpr14_sgpr15
                                        ; implicit-def: $sgpr18_sgpr19
	s_mov_b64 s[22:23], s[16:17]
	s_andn2_b64 vcc, exec, s[24:25]
	s_cbranch_vccnz .LBB13_101
	s_branch .LBB13_98
.LBB13_103:
	s_or_b64 exec, exec, s[6:7]
	s_cmp_lt_i32 s48, 2
	s_cselect_b64 s[10:11], -1, 0
	s_mov_b64 s[66:67], 0
	s_and_b64 vcc, exec, s[10:11]
	s_barrier
	s_cbranch_vccnz .LBB13_111
; %bb.104:
	s_add_i32 s20, s48, -1
	v_cmp_gt_u32_e32 vcc, s20, v41
	s_mov_b64 s[10:11], -1
	s_mov_b64 s[6:7], 0
	s_and_saveexec_b64 s[8:9], vcc
	s_cbranch_execz .LBB13_113
; %bb.105:
	s_add_u32 s21, s36, 4
	s_addc_u32 s22, s37, 0
	s_mov_b64 s[10:11], 0
	v_mov_b32_e32 v1, 0
	v_mov_b32_e32 v2, s37
	;; [unrolled: 1-line block ×3, first 2 shown]
                                        ; implicit-def: $sgpr12_sgpr13
	s_branch .LBB13_107
.LBB13_106:                             ;   in Loop: Header=BB13_107 Depth=1
	s_or_b64 exec, exec, s[18:19]
	s_xor_b64 s[14:15], s[14:15], -1
	s_and_b64 s[6:7], exec, s[6:7]
	s_or_b64 s[10:11], s[6:7], s[10:11]
	s_andn2_b64 s[6:7], s[12:13], exec
	s_and_b64 s[12:13], s[14:15], exec
	s_or_b64 s[12:13], s[6:7], s[12:13]
	s_andn2_b64 exec, exec, s[10:11]
	s_cbranch_execz .LBB13_112
.LBB13_107:                             ; =>This Inner Loop Header: Depth=1
	v_lshlrev_b64 v[4:5], 2, v[0:1]
	v_add_co_u32_e32 v4, vcc, s36, v4
	v_addc_co_u32_e32 v5, vcc, v2, v5, vcc
	global_load_dword v3, v[4:5], off
                                        ; implicit-def: $sgpr14_sgpr15
	s_waitcnt vmcnt(0)
	v_cmp_u_f32_e64 s[16:17], v3, v3
	v_cmp_o_f32_e32 vcc, v3, v3
	s_and_saveexec_b64 s[18:19], vcc
	s_cbranch_execz .LBB13_109
; %bb.108:                              ;   in Loop: Header=BB13_107 Depth=1
	v_ashrrev_i32_e32 v5, 31, v0
	v_mov_b32_e32 v4, v0
	v_lshlrev_b64 v[4:5], 2, v[4:5]
	v_mov_b32_e32 v6, s22
	v_add_co_u32_e32 v4, vcc, s21, v4
	v_addc_co_u32_e32 v5, vcc, v6, v5, vcc
	global_load_dword v4, v[4:5], off
	s_andn2_b64 s[16:17], s[16:17], exec
	s_mov_b64 s[14:15], -1
	s_waitcnt vmcnt(0)
	v_cmp_u_f32_e32 vcc, v4, v4
	v_cmp_ge_f32_e64 s[6:7], v3, v4
	s_or_b64 s[6:7], vcc, s[6:7]
	s_and_b64 s[6:7], s[6:7], exec
	s_or_b64 s[16:17], s[16:17], s[6:7]
.LBB13_109:                             ;   in Loop: Header=BB13_107 Depth=1
	s_or_b64 exec, exec, s[18:19]
	s_mov_b64 s[6:7], -1
	s_and_saveexec_b64 s[18:19], s[16:17]
	s_cbranch_execz .LBB13_106
; %bb.110:                              ;   in Loop: Header=BB13_107 Depth=1
	v_add_u32_e32 v0, s60, v0
	v_cmp_le_u32_e32 vcc, s20, v0
	s_andn2_b64 s[14:15], s[14:15], exec
	s_orn2_b64 s[6:7], vcc, exec
	s_branch .LBB13_106
.LBB13_111:
	s_mov_b64 s[6:7], 0
	s_branch .LBB13_114
.LBB13_112:
	s_or_b64 exec, exec, s[10:11]
	s_mov_b64 s[6:7], exec
	s_orn2_b64 s[10:11], s[12:13], exec
.LBB13_113:
	s_or_b64 exec, exec, s[8:9]
.LBB13_114:
	s_and_saveexec_b64 s[8:9], s[10:11]
	s_cbranch_execz .LBB13_116
; %bb.115:
	s_mov_b64 s[66:67], exec
	s_barrier
	s_andn2_b64 s[6:7], s[6:7], exec
.LBB13_116:
	s_or_b64 exec, exec, s[8:9]
	s_mov_b64 s[62:63], 0
	s_and_saveexec_b64 s[68:69], s[6:7]
	s_cbranch_execz .LBB13_118
; %bb.117:
	s_add_u32 s8, s4, 0x90
	s_addc_u32 s9, s5, 0
	s_getpc_b64 s[6:7]
	s_add_u32 s6, s6, __PRETTY_FUNCTION__._ZN9rocsolver6v33100L21shell_sort_descendingIfiEEvT0_PT_PS2_@rel32@lo+4
	s_addc_u32 s7, s7, __PRETTY_FUNCTION__._ZN9rocsolver6v33100L21shell_sort_descendingIfiEEvT0_PT_PS2_@rel32@hi+12
	v_mov_b32_e32 v0, s6
	v_mov_b32_e32 v1, s7
	s_getpc_b64 s[10:11]
	s_add_u32 s10, s10, __assert_fail@rel32@lo+4
	s_addc_u32 s11, s11, __assert_fail@rel32@hi+12
	s_mov_b64 s[62:63], s[4:5]
	s_swappc_b64 s[30:31], s[10:11]
	s_mov_b64 s[4:5], s[62:63]
	s_mov_b64 s[62:63], exec
.LBB13_118:
	s_or_b64 exec, exec, s[68:69]
.LBB13_119:
	s_and_saveexec_b64 s[20:21], s[66:67]
	s_cbranch_execz .LBB13_143
; %bb.120:
	s_andn2_b64 vcc, exec, s[64:65]
	s_barrier
	s_cbranch_vccnz .LBB13_142
; %bb.121:
	s_cmp_gt_i32 s49, 0
	s_cselect_b64 s[14:15], -1, 0
	s_ashr_i32 s33, s47, 31
	s_cmp_gt_i32 s50, 0
	s_cselect_b64 s[16:17], -1, 0
	s_cmp_gt_i32 s51, 0
	v_cndmask_b32_e64 v0, 0, 1, s[14:15]
	s_cselect_b64 s[18:19], -1, 0
	v_cmp_ne_u32_e64 s[14:15], 1, v0
	v_cndmask_b32_e64 v0, 0, 1, s[16:17]
	s_mov_b32 s23, 0
	v_cmp_ne_u32_e64 s[16:17], 1, v0
	v_cndmask_b32_e64 v0, 0, 1, s[18:19]
	v_cmp_eq_u32_e64 s[6:7], 0, v41
	v_cmp_gt_u32_e64 s[8:9], s49, v41
	s_mov_b32 s72, s47
	v_cmp_gt_u32_e64 s[10:11], s50, v41
	s_mov_b32 s73, s43
	v_cmp_gt_u32_e64 s[12:13], s51, v41
	s_ashr_i32 s74, s61, 31
	s_mov_b32 s75, s61
	v_mov_b32_e32 v1, 0
	v_cmp_ne_u32_e64 s[18:19], 1, v0
	s_mov_b32 s22, s23
	s_branch .LBB13_123
.LBB13_122:                             ;   in Loop: Header=BB13_123 Depth=1
	s_add_i32 s22, s22, 1
	s_cmp_eq_u32 s22, s48
	s_cbranch_scc1 .LBB13_142
.LBB13_123:                             ; =>This Loop Header: Depth=1
                                        ;     Child Loop BB13_126 Depth 2
                                        ;       Child Loop BB13_131 Depth 3
                                        ;       Child Loop BB13_136 Depth 3
	;; [unrolled: 1-line block ×3, first 2 shown]
	s_lshl_b64 s[24:25], s[22:23], 2
	s_add_u32 s24, s56, s24
	s_addc_u32 s25, s57, s25
	global_load_dword v0, v1, s[24:25]
	s_waitcnt vmcnt(0)
	v_cmp_eq_u32_e32 vcc, s22, v0
	v_readfirstlane_b32 s64, v0
	s_cbranch_vccz .LBB13_126
	s_branch .LBB13_122
.LBB13_124:                             ;   in Loop: Header=BB13_126 Depth=2
	s_or_b64 exec, exec, s[64:65]
	s_waitcnt lgkmcnt(0)
	s_barrier
.LBB13_125:                             ;   in Loop: Header=BB13_126 Depth=2
	global_load_dword v0, v1, s[24:25]
	s_waitcnt vmcnt(0)
	v_cmp_ne_u32_e32 vcc, s22, v0
	v_readfirstlane_b32 s64, v0
	s_cbranch_vccz .LBB13_122
.LBB13_126:                             ;   Parent Loop BB13_123 Depth=1
                                        ; =>  This Loop Header: Depth=2
                                        ;       Child Loop BB13_131 Depth 3
                                        ;       Child Loop BB13_136 Depth 3
	;; [unrolled: 1-line block ×3, first 2 shown]
	s_ashr_i32 s65, s64, 31
	s_lshl_b64 s[30:31], s[64:65], 2
	s_add_u32 s66, s56, s30
	s_addc_u32 s67, s57, s31
	global_load_dword v0, v1, s[66:67]
	s_barrier
	s_waitcnt vmcnt(0)
	v_readfirstlane_b32 s58, v0
	s_and_saveexec_b64 s[68:69], s[6:7]
	s_cbranch_execz .LBB13_128
; %bb.127:                              ;   in Loop: Header=BB13_126 Depth=2
	v_mov_b32_e32 v0, s64
	global_store_dword v1, v0, s[66:67]
	v_mov_b32_e32 v0, s58
	global_store_dword v1, v0, s[24:25]
.LBB13_128:                             ;   in Loop: Header=BB13_126 Depth=2
	s_or_b64 exec, exec, s[68:69]
	s_and_b64 vcc, exec, s[14:15]
	s_barrier
	s_cbranch_vccnz .LBB13_133
; %bb.129:                              ;   in Loop: Header=BB13_126 Depth=2
	s_and_saveexec_b64 s[66:67], s[8:9]
	s_cbranch_execz .LBB13_132
; %bb.130:                              ;   in Loop: Header=BB13_126 Depth=2
	s_ashr_i32 s59, s58, 31
	s_mov_b64 s[68:69], 0
	s_lshl_b64 s[70:71], s[58:59], 2
	v_mov_b32_e32 v0, v41
.LBB13_131:                             ;   Parent Loop BB13_123 Depth=1
                                        ;     Parent Loop BB13_126 Depth=2
                                        ; =>    This Inner Loop Header: Depth=3
	v_mad_u64_u32 v[2:3], s[76:77], v0, s72, 0
	v_mov_b32_e32 v4, v3
	v_mad_u64_u32 v[4:5], s[76:77], v0, s33, v[4:5]
	v_mov_b32_e32 v3, v4
	v_lshlrev_b64 v[2:3], 2, v[2:3]
	v_mov_b32_e32 v6, s35
	v_add_co_u32_e32 v4, vcc, s34, v2
	v_addc_co_u32_e32 v5, vcc, v6, v3, vcc
	v_mov_b32_e32 v7, s31
	v_add_co_u32_e32 v2, vcc, s30, v4
	v_addc_co_u32_e32 v3, vcc, v5, v7, vcc
	;; [unrolled: 3-line block ×3, first 2 shown]
	flat_load_dword v6, v[4:5]
	flat_load_dword v7, v[2:3]
	v_add_u32_e32 v0, s60, v0
	v_cmp_le_u32_e32 vcc, s49, v0
	s_or_b64 s[68:69], vcc, s[68:69]
	s_waitcnt vmcnt(0) lgkmcnt(0)
	flat_store_dword v[2:3], v6
	flat_store_dword v[4:5], v7
	s_andn2_b64 exec, exec, s[68:69]
	s_cbranch_execnz .LBB13_131
.LBB13_132:                             ;   in Loop: Header=BB13_126 Depth=2
	s_or_b64 exec, exec, s[66:67]
	s_waitcnt lgkmcnt(0)
	s_barrier
.LBB13_133:                             ;   in Loop: Header=BB13_126 Depth=2
	s_and_b64 vcc, exec, s[16:17]
	s_cbranch_vccnz .LBB13_138
; %bb.134:                              ;   in Loop: Header=BB13_126 Depth=2
	s_and_saveexec_b64 s[66:67], s[10:11]
	s_cbranch_execz .LBB13_137
; %bb.135:                              ;   in Loop: Header=BB13_126 Depth=2
	s_mul_hi_i32 s65, s64, s73
	s_mul_i32 s64, s64, s73
	s_lshl_b64 s[64:65], s[64:65], 2
	s_add_u32 s59, s28, s64
	s_addc_u32 s69, s29, s65
	s_mul_hi_i32 s65, s58, s73
	s_mul_i32 s64, s58, s73
	s_lshl_b64 s[64:65], s[64:65], 2
	s_add_u32 s68, s28, s64
	s_addc_u32 s70, s29, s65
	s_mov_b64 s[64:65], 0
	v_mov_b32_e32 v2, s69
	v_mov_b32_e32 v3, s70
	v_mov_b32_e32 v0, v41
.LBB13_136:                             ;   Parent Loop BB13_123 Depth=1
                                        ;     Parent Loop BB13_126 Depth=2
                                        ; =>    This Inner Loop Header: Depth=3
	v_lshlrev_b64 v[4:5], 2, v[0:1]
	v_add_co_u32_e32 v6, vcc, s59, v4
	v_addc_co_u32_e32 v7, vcc, v2, v5, vcc
	v_add_co_u32_e32 v4, vcc, s68, v4
	v_addc_co_u32_e32 v5, vcc, v3, v5, vcc
	flat_load_dword v8, v[4:5]
	flat_load_dword v9, v[6:7]
	v_add_u32_e32 v0, s60, v0
	v_cmp_le_u32_e32 vcc, s50, v0
	s_or_b64 s[64:65], vcc, s[64:65]
	s_waitcnt vmcnt(0) lgkmcnt(0)
	flat_store_dword v[6:7], v8
	flat_store_dword v[4:5], v9
	s_andn2_b64 exec, exec, s[64:65]
	s_cbranch_execnz .LBB13_136
.LBB13_137:                             ;   in Loop: Header=BB13_126 Depth=2
	s_or_b64 exec, exec, s[66:67]
	s_waitcnt lgkmcnt(0)
	s_barrier
.LBB13_138:                             ;   in Loop: Header=BB13_126 Depth=2
	s_and_b64 vcc, exec, s[18:19]
	s_cbranch_vccnz .LBB13_125
; %bb.139:                              ;   in Loop: Header=BB13_126 Depth=2
	s_and_saveexec_b64 s[64:65], s[12:13]
	s_cbranch_execz .LBB13_124
; %bb.140:                              ;   in Loop: Header=BB13_126 Depth=2
	s_ashr_i32 s59, s58, 31
	s_mov_b64 s[66:67], 0
	s_lshl_b64 s[58:59], s[58:59], 2
	v_mov_b32_e32 v0, v41
.LBB13_141:                             ;   Parent Loop BB13_123 Depth=1
                                        ;     Parent Loop BB13_126 Depth=2
                                        ; =>    This Inner Loop Header: Depth=3
	v_mad_u64_u32 v[2:3], s[68:69], v0, s75, 0
	v_mov_b32_e32 v4, v3
	v_mad_u64_u32 v[4:5], s[68:69], v0, s74, v[4:5]
	v_mov_b32_e32 v3, v4
	v_lshlrev_b64 v[2:3], 2, v[2:3]
	v_mov_b32_e32 v6, s45
	v_add_co_u32_e32 v4, vcc, s44, v2
	v_addc_co_u32_e32 v5, vcc, v6, v3, vcc
	v_mov_b32_e32 v7, s31
	v_add_co_u32_e32 v2, vcc, s30, v4
	v_addc_co_u32_e32 v3, vcc, v5, v7, vcc
	;; [unrolled: 3-line block ×3, first 2 shown]
	flat_load_dword v6, v[4:5]
	flat_load_dword v7, v[2:3]
	v_add_u32_e32 v0, s60, v0
	v_cmp_le_u32_e32 vcc, s51, v0
	s_or_b64 s[66:67], vcc, s[66:67]
	s_waitcnt vmcnt(0) lgkmcnt(0)
	flat_store_dword v[2:3], v6
	flat_store_dword v[4:5], v7
	s_andn2_b64 exec, exec, s[66:67]
	s_cbranch_execnz .LBB13_141
	s_branch .LBB13_124
.LBB13_142:
	s_mov_b64 s[58:59], exec
.LBB13_143:
	s_or_b64 exec, exec, s[20:21]
	s_branch .LBB13_232
.LBB13_144:
	s_mov_b64 s[58:59], -1
	s_and_b64 vcc, exec, s[40:41]
	s_cbranch_vccz .LBB13_232
; %bb.145:
	v_or3_b32 v0, v43, v44, v42
	v_cmp_eq_u32_e32 vcc, 0, v0
	s_barrier
	s_barrier
	s_and_saveexec_b64 s[6:7], vcc
	s_cbranch_execz .LBB13_216
; %bb.146:
	s_cmpk_lt_u32 s48, 0x2be
	s_cbranch_scc1 .LBB13_155
; %bb.147:
	s_mov_b64 s[8:9], 0x2bd
	s_mov_b32 s11, 0
	v_mov_b32_e32 v0, 0
	s_mov_b64 s[12:13], s[36:37]
	s_branch .LBB13_149
.LBB13_148:                             ;   in Loop: Header=BB13_149 Depth=1
	s_lshl_b64 s[14:15], s[14:15], 2
	s_add_u32 s14, s36, s14
	s_addc_u32 s15, s37, s15
	s_add_u32 s8, s8, 1
	s_addc_u32 s9, s9, 0
	;; [unrolled: 2-line block ×3, first 2 shown]
	s_cmp_eq_u32 s8, s48
	global_store_dword v0, v1, s[14:15]
	s_cbranch_scc1 .LBB13_155
.LBB13_149:                             ; =>This Loop Header: Depth=1
                                        ;     Child Loop BB13_151 Depth 2
	s_mov_b32 s10, s8
	s_lshl_b64 s[14:15], s[10:11], 2
	s_add_u32 s14, s36, s14
	s_addc_u32 s15, s37, s15
	global_load_dword v1, v0, s[14:15]
	s_mov_b64 s[16:17], s[12:13]
	s_mov_b64 s[14:15], s[8:9]
	s_branch .LBB13_151
.LBB13_150:                             ;   in Loop: Header=BB13_151 Depth=2
	s_add_u32 s18, s14, 0xfffffd43
	s_addc_u32 s19, s15, -1
	global_store_dword v0, v2, s[16:17] offset:2804
	s_add_u32 s16, s16, 0xfffff50c
	s_addc_u32 s17, s17, -1
	s_cmpk_lt_i32 s14, 0x57a
	s_mov_b64 s[20:21], 0
	s_cselect_b64 s[22:23], -1, 0
	s_mov_b64 s[14:15], s[18:19]
	s_andn2_b64 vcc, exec, s[22:23]
	s_cbranch_vccz .LBB13_153
.LBB13_151:                             ;   Parent Loop BB13_149 Depth=1
                                        ; =>  This Inner Loop Header: Depth=2
	global_load_dword v2, v0, s[16:17]
	s_mov_b64 s[20:21], -1
	s_waitcnt vmcnt(0)
	v_cmp_nlt_f32_e32 vcc, v2, v1
	s_cbranch_vccz .LBB13_150
; %bb.152:                              ;   in Loop: Header=BB13_149 Depth=1
                                        ; implicit-def: $sgpr16_sgpr17
                                        ; implicit-def: $sgpr18_sgpr19
.LBB13_153:                             ;   in Loop: Header=BB13_149 Depth=1
	s_andn2_b64 vcc, exec, s[20:21]
	s_cbranch_vccz .LBB13_148
; %bb.154:                              ;   in Loop: Header=BB13_149 Depth=1
	s_bfe_i64 s[14:15], s[18:19], 0x200000
	s_branch .LBB13_148
.LBB13_155:
	s_cmpk_lt_i32 s48, 0x12e
	s_cbranch_scc1 .LBB13_164
; %bb.156:
	s_mov_b64 s[8:9], 0x12d
	s_mov_b32 s11, 0
	v_mov_b32_e32 v0, 0
	s_mov_b64 s[12:13], s[36:37]
	s_branch .LBB13_158
.LBB13_157:                             ;   in Loop: Header=BB13_158 Depth=1
	s_lshl_b64 s[14:15], s[14:15], 2
	s_add_u32 s14, s36, s14
	s_addc_u32 s15, s37, s15
	s_add_u32 s8, s8, 1
	s_addc_u32 s9, s9, 0
	;; [unrolled: 2-line block ×3, first 2 shown]
	s_cmp_lg_u32 s8, s48
	global_store_dword v0, v1, s[14:15]
	s_cbranch_scc0 .LBB13_164
.LBB13_158:                             ; =>This Loop Header: Depth=1
                                        ;     Child Loop BB13_160 Depth 2
	s_mov_b32 s10, s8
	s_lshl_b64 s[14:15], s[10:11], 2
	s_add_u32 s14, s36, s14
	s_addc_u32 s15, s37, s15
	global_load_dword v1, v0, s[14:15]
	s_mov_b64 s[16:17], s[12:13]
	s_mov_b64 s[14:15], s[8:9]
	s_branch .LBB13_160
.LBB13_159:                             ;   in Loop: Header=BB13_160 Depth=2
	s_add_u32 s18, s14, 0xfffffed3
	s_addc_u32 s19, s15, -1
	global_store_dword v0, v2, s[16:17] offset:1204
	s_add_u32 s16, s16, 0xfffffb4c
	s_addc_u32 s17, s17, -1
	s_cmpk_lt_i32 s14, 0x25a
	s_mov_b64 s[20:21], 0
	s_cselect_b64 s[22:23], -1, 0
	s_mov_b64 s[14:15], s[18:19]
	s_andn2_b64 vcc, exec, s[22:23]
	s_cbranch_vccz .LBB13_162
.LBB13_160:                             ;   Parent Loop BB13_158 Depth=1
                                        ; =>  This Inner Loop Header: Depth=2
	global_load_dword v2, v0, s[16:17]
	s_mov_b64 s[20:21], -1
	s_waitcnt vmcnt(0)
	v_cmp_nlt_f32_e32 vcc, v2, v1
	s_cbranch_vccz .LBB13_159
; %bb.161:                              ;   in Loop: Header=BB13_158 Depth=1
                                        ; implicit-def: $sgpr16_sgpr17
                                        ; implicit-def: $sgpr18_sgpr19
.LBB13_162:                             ;   in Loop: Header=BB13_158 Depth=1
	s_andn2_b64 vcc, exec, s[20:21]
	s_cbranch_vccz .LBB13_157
; %bb.163:                              ;   in Loop: Header=BB13_158 Depth=1
	s_bfe_i64 s[14:15], s[18:19], 0x200000
	s_branch .LBB13_157
.LBB13_164:
	s_cmpk_lt_i32 s48, 0x85
	s_cbranch_scc1 .LBB13_173
; %bb.165:
	s_mov_b64 s[8:9], 0x84
	s_mov_b32 s11, 0
	v_mov_b32_e32 v0, 0
	s_mov_b64 s[12:13], s[36:37]
	s_branch .LBB13_167
.LBB13_166:                             ;   in Loop: Header=BB13_167 Depth=1
	s_lshl_b64 s[14:15], s[14:15], 2
	s_add_u32 s14, s36, s14
	s_addc_u32 s15, s37, s15
	s_add_u32 s8, s8, 1
	s_addc_u32 s9, s9, 0
	;; [unrolled: 2-line block ×3, first 2 shown]
	s_cmp_lg_u32 s8, s48
	global_store_dword v0, v1, s[14:15]
	s_cbranch_scc0 .LBB13_173
.LBB13_167:                             ; =>This Loop Header: Depth=1
                                        ;     Child Loop BB13_169 Depth 2
	s_mov_b32 s10, s8
	s_lshl_b64 s[14:15], s[10:11], 2
	s_add_u32 s14, s36, s14
	s_addc_u32 s15, s37, s15
	global_load_dword v1, v0, s[14:15]
	s_mov_b64 s[16:17], s[12:13]
	s_mov_b64 s[14:15], s[8:9]
	s_branch .LBB13_169
.LBB13_168:                             ;   in Loop: Header=BB13_169 Depth=2
	s_add_u32 s18, s14, 0xffffff7c
	s_addc_u32 s19, s15, -1
	global_store_dword v0, v2, s[16:17] offset:528
	s_add_u32 s16, s16, 0xfffffdf0
	s_addc_u32 s17, s17, -1
	s_cmpk_lt_i32 s14, 0x108
	s_mov_b64 s[20:21], 0
	s_cselect_b64 s[22:23], -1, 0
	s_mov_b64 s[14:15], s[18:19]
	s_andn2_b64 vcc, exec, s[22:23]
	s_cbranch_vccz .LBB13_171
.LBB13_169:                             ;   Parent Loop BB13_167 Depth=1
                                        ; =>  This Inner Loop Header: Depth=2
	global_load_dword v2, v0, s[16:17]
	s_mov_b64 s[20:21], -1
	s_waitcnt vmcnt(0)
	v_cmp_nlt_f32_e32 vcc, v2, v1
	s_cbranch_vccz .LBB13_168
; %bb.170:                              ;   in Loop: Header=BB13_167 Depth=1
                                        ; implicit-def: $sgpr16_sgpr17
                                        ; implicit-def: $sgpr18_sgpr19
.LBB13_171:                             ;   in Loop: Header=BB13_167 Depth=1
	s_andn2_b64 vcc, exec, s[20:21]
	s_cbranch_vccz .LBB13_166
; %bb.172:                              ;   in Loop: Header=BB13_167 Depth=1
	s_bfe_i64 s[14:15], s[18:19], 0x200000
	s_branch .LBB13_166
.LBB13_173:
	s_cmp_lt_i32 s48, 58
	s_cbranch_scc1 .LBB13_182
; %bb.174:
	s_mov_b64 s[8:9], 57
	s_mov_b32 s11, 0
	v_mov_b32_e32 v0, 0
	s_mov_b64 s[12:13], s[36:37]
	s_branch .LBB13_176
.LBB13_175:                             ;   in Loop: Header=BB13_176 Depth=1
	s_lshl_b64 s[14:15], s[14:15], 2
	s_add_u32 s14, s36, s14
	s_addc_u32 s15, s37, s15
	s_add_u32 s8, s8, 1
	s_addc_u32 s9, s9, 0
	;; [unrolled: 2-line block ×3, first 2 shown]
	s_cmp_lg_u32 s8, s48
	global_store_dword v0, v1, s[14:15]
	s_cbranch_scc0 .LBB13_182
.LBB13_176:                             ; =>This Loop Header: Depth=1
                                        ;     Child Loop BB13_178 Depth 2
	s_mov_b32 s10, s8
	s_lshl_b64 s[14:15], s[10:11], 2
	s_add_u32 s14, s36, s14
	s_addc_u32 s15, s37, s15
	global_load_dword v1, v0, s[14:15]
	s_mov_b64 s[16:17], s[12:13]
	s_mov_b64 s[14:15], s[8:9]
	s_branch .LBB13_178
.LBB13_177:                             ;   in Loop: Header=BB13_178 Depth=2
	s_add_u32 s18, s14, 0xffffffc7
	s_addc_u32 s19, s15, -1
	global_store_dword v0, v2, s[16:17] offset:228
	s_add_u32 s16, s16, 0xffffff1c
	s_addc_u32 s17, s17, -1
	s_cmpk_lt_i32 s14, 0x72
	s_mov_b64 s[20:21], 0
	s_cselect_b64 s[22:23], -1, 0
	s_mov_b64 s[14:15], s[18:19]
	s_andn2_b64 vcc, exec, s[22:23]
	s_cbranch_vccz .LBB13_180
.LBB13_178:                             ;   Parent Loop BB13_176 Depth=1
                                        ; =>  This Inner Loop Header: Depth=2
	global_load_dword v2, v0, s[16:17]
	s_mov_b64 s[20:21], -1
	s_waitcnt vmcnt(0)
	v_cmp_nlt_f32_e32 vcc, v2, v1
	s_cbranch_vccz .LBB13_177
; %bb.179:                              ;   in Loop: Header=BB13_176 Depth=1
                                        ; implicit-def: $sgpr16_sgpr17
                                        ; implicit-def: $sgpr18_sgpr19
.LBB13_180:                             ;   in Loop: Header=BB13_176 Depth=1
	s_andn2_b64 vcc, exec, s[20:21]
	s_cbranch_vccz .LBB13_175
; %bb.181:                              ;   in Loop: Header=BB13_176 Depth=1
	s_bfe_i64 s[14:15], s[18:19], 0x200000
	s_branch .LBB13_175
.LBB13_182:
	s_cmp_lt_i32 s48, 24
	s_cbranch_scc1 .LBB13_191
; %bb.183:
	s_mov_b64 s[8:9], 23
	s_mov_b32 s11, 0
	v_mov_b32_e32 v0, 0
	s_mov_b64 s[12:13], s[36:37]
	s_branch .LBB13_185
.LBB13_184:                             ;   in Loop: Header=BB13_185 Depth=1
	s_lshl_b64 s[14:15], s[14:15], 2
	s_add_u32 s14, s36, s14
	s_addc_u32 s15, s37, s15
	s_add_u32 s8, s8, 1
	s_addc_u32 s9, s9, 0
	;; [unrolled: 2-line block ×3, first 2 shown]
	s_cmp_lg_u32 s8, s48
	global_store_dword v0, v1, s[14:15]
	s_cbranch_scc0 .LBB13_191
.LBB13_185:                             ; =>This Loop Header: Depth=1
                                        ;     Child Loop BB13_187 Depth 2
	s_mov_b32 s10, s8
	s_lshl_b64 s[14:15], s[10:11], 2
	s_add_u32 s14, s36, s14
	s_addc_u32 s15, s37, s15
	global_load_dword v1, v0, s[14:15]
	s_mov_b64 s[16:17], s[12:13]
	s_mov_b64 s[14:15], s[8:9]
	s_branch .LBB13_187
.LBB13_186:                             ;   in Loop: Header=BB13_187 Depth=2
	s_add_u32 s18, s14, 0xffffffe9
	s_addc_u32 s19, s15, -1
	global_store_dword v0, v2, s[16:17] offset:92
	s_add_u32 s16, s16, 0xffffffa4
	s_addc_u32 s17, s17, -1
	s_cmp_lt_i32 s14, 46
	s_mov_b64 s[20:21], 0
	s_cselect_b64 s[22:23], -1, 0
	s_mov_b64 s[14:15], s[18:19]
	s_andn2_b64 vcc, exec, s[22:23]
	s_cbranch_vccz .LBB13_189
.LBB13_187:                             ;   Parent Loop BB13_185 Depth=1
                                        ; =>  This Inner Loop Header: Depth=2
	global_load_dword v2, v0, s[16:17]
	s_mov_b64 s[20:21], -1
	s_waitcnt vmcnt(0)
	v_cmp_nlt_f32_e32 vcc, v2, v1
	s_cbranch_vccz .LBB13_186
; %bb.188:                              ;   in Loop: Header=BB13_185 Depth=1
                                        ; implicit-def: $sgpr16_sgpr17
                                        ; implicit-def: $sgpr18_sgpr19
.LBB13_189:                             ;   in Loop: Header=BB13_185 Depth=1
	s_andn2_b64 vcc, exec, s[20:21]
	s_cbranch_vccz .LBB13_184
; %bb.190:                              ;   in Loop: Header=BB13_185 Depth=1
	s_bfe_i64 s[14:15], s[18:19], 0x200000
	s_branch .LBB13_184
.LBB13_191:
	s_cmp_lt_i32 s48, 11
	s_cbranch_scc1 .LBB13_200
; %bb.192:
	s_mov_b64 s[8:9], 10
	s_mov_b32 s11, 0
	v_mov_b32_e32 v0, 0
	s_mov_b64 s[12:13], s[36:37]
	s_branch .LBB13_194
.LBB13_193:                             ;   in Loop: Header=BB13_194 Depth=1
	s_lshl_b64 s[14:15], s[14:15], 2
	s_add_u32 s14, s36, s14
	s_addc_u32 s15, s37, s15
	s_add_u32 s8, s8, 1
	s_addc_u32 s9, s9, 0
	;; [unrolled: 2-line block ×3, first 2 shown]
	s_cmp_lg_u32 s8, s48
	global_store_dword v0, v1, s[14:15]
	s_cbranch_scc0 .LBB13_200
.LBB13_194:                             ; =>This Loop Header: Depth=1
                                        ;     Child Loop BB13_196 Depth 2
	s_mov_b32 s10, s8
	s_lshl_b64 s[14:15], s[10:11], 2
	s_add_u32 s14, s36, s14
	s_addc_u32 s15, s37, s15
	global_load_dword v1, v0, s[14:15]
	s_mov_b64 s[16:17], s[12:13]
	s_mov_b64 s[14:15], s[8:9]
	s_branch .LBB13_196
.LBB13_195:                             ;   in Loop: Header=BB13_196 Depth=2
	s_add_u32 s18, s14, -10
	s_addc_u32 s19, s15, -1
	global_store_dword v0, v2, s[16:17] offset:40
	s_add_u32 s16, s16, 0xffffffd8
	s_addc_u32 s17, s17, -1
	s_cmp_lt_i32 s14, 20
	s_mov_b64 s[20:21], 0
	s_cselect_b64 s[22:23], -1, 0
	s_mov_b64 s[14:15], s[18:19]
	s_andn2_b64 vcc, exec, s[22:23]
	s_cbranch_vccz .LBB13_198
.LBB13_196:                             ;   Parent Loop BB13_194 Depth=1
                                        ; =>  This Inner Loop Header: Depth=2
	global_load_dword v2, v0, s[16:17]
	s_mov_b64 s[20:21], -1
	s_waitcnt vmcnt(0)
	v_cmp_nlt_f32_e32 vcc, v2, v1
	s_cbranch_vccz .LBB13_195
; %bb.197:                              ;   in Loop: Header=BB13_194 Depth=1
                                        ; implicit-def: $sgpr16_sgpr17
                                        ; implicit-def: $sgpr18_sgpr19
.LBB13_198:                             ;   in Loop: Header=BB13_194 Depth=1
	s_andn2_b64 vcc, exec, s[20:21]
	s_cbranch_vccz .LBB13_193
; %bb.199:                              ;   in Loop: Header=BB13_194 Depth=1
	s_bfe_i64 s[14:15], s[18:19], 0x200000
	s_branch .LBB13_193
.LBB13_200:
	s_cmp_lt_i32 s48, 5
	s_cbranch_scc1 .LBB13_209
; %bb.201:
	s_add_u32 s8, s54, s52
	s_addc_u32 s9, s55, s53
	s_add_u32 s8, s8, 16
	s_addc_u32 s9, s9, 0
	s_mov_b64 s[10:11], 4
	s_mov_b32 s13, 0
	v_mov_b32_e32 v0, 0
	s_branch .LBB13_203
.LBB13_202:                             ;   in Loop: Header=BB13_203 Depth=1
	s_lshl_b64 s[14:15], s[14:15], 2
	s_add_u32 s14, s36, s14
	s_addc_u32 s15, s37, s15
	s_add_u32 s10, s10, 1
	s_addc_u32 s11, s11, 0
	;; [unrolled: 2-line block ×3, first 2 shown]
	s_cmp_lg_u32 s10, s48
	global_store_dword v0, v1, s[14:15]
	s_cbranch_scc0 .LBB13_209
.LBB13_203:                             ; =>This Loop Header: Depth=1
                                        ;     Child Loop BB13_205 Depth 2
	s_mov_b32 s12, s10
	s_lshl_b64 s[14:15], s[12:13], 2
	s_add_u32 s14, s36, s14
	s_addc_u32 s15, s37, s15
	global_load_dword v1, v0, s[14:15]
	s_mov_b64 s[16:17], s[8:9]
	s_mov_b64 s[14:15], s[10:11]
	s_branch .LBB13_205
.LBB13_204:                             ;   in Loop: Header=BB13_205 Depth=2
	s_add_u32 s20, s14, -4
	s_addc_u32 s21, s15, -1
	s_cmp_lt_i32 s14, 8
	global_store_dword v0, v2, s[16:17]
	s_mov_b64 s[18:19], 0
	s_cselect_b64 s[24:25], -1, 0
	s_mov_b64 s[14:15], s[20:21]
	s_mov_b64 s[16:17], s[22:23]
	s_andn2_b64 vcc, exec, s[24:25]
	s_cbranch_vccz .LBB13_207
.LBB13_205:                             ;   Parent Loop BB13_203 Depth=1
                                        ; =>  This Inner Loop Header: Depth=2
	global_load_dword v2, v0, s[16:17] offset:-16
	s_add_u32 s22, s16, -16
	s_addc_u32 s23, s17, -1
	s_mov_b64 s[18:19], -1
	s_waitcnt vmcnt(0)
	v_cmp_nlt_f32_e32 vcc, v2, v1
	s_cbranch_vccz .LBB13_204
; %bb.206:                              ;   in Loop: Header=BB13_203 Depth=1
                                        ; implicit-def: $sgpr16_sgpr17
                                        ; implicit-def: $sgpr20_sgpr21
.LBB13_207:                             ;   in Loop: Header=BB13_203 Depth=1
	s_andn2_b64 vcc, exec, s[18:19]
	s_cbranch_vccz .LBB13_202
; %bb.208:                              ;   in Loop: Header=BB13_203 Depth=1
	s_bfe_i64 s[14:15], s[20:21], 0x200000
	s_branch .LBB13_202
.LBB13_209:
	s_cmp_lt_i32 s48, 2
	s_cbranch_scc1 .LBB13_216
; %bb.210:
	s_add_u32 s8, s54, s52
	s_addc_u32 s9, s55, s53
	s_add_u32 s8, s8, 4
	s_addc_u32 s9, s9, 0
	s_mov_b64 s[10:11], 1
	s_mov_b32 s13, 0
	v_mov_b32_e32 v0, 0
	s_branch .LBB13_212
.LBB13_211:                             ;   in Loop: Header=BB13_212 Depth=1
	s_lshl_b64 s[14:15], s[18:19], 2
	s_add_u32 s14, s36, s14
	s_addc_u32 s15, s37, s15
	s_add_u32 s10, s10, 1
	s_addc_u32 s11, s11, 0
	;; [unrolled: 2-line block ×3, first 2 shown]
	s_cmp_eq_u32 s10, s48
	global_store_dword v0, v1, s[14:15]
	s_cbranch_scc1 .LBB13_216
.LBB13_212:                             ; =>This Loop Header: Depth=1
                                        ;     Child Loop BB13_214 Depth 2
	s_mov_b32 s12, s10
	s_lshl_b64 s[14:15], s[12:13], 2
	s_add_u32 s14, s36, s14
	s_addc_u32 s15, s37, s15
	global_load_dword v1, v0, s[14:15]
	s_mov_b64 s[16:17], s[8:9]
	s_mov_b64 s[14:15], s[10:11]
	s_branch .LBB13_214
.LBB13_213:                             ;   in Loop: Header=BB13_214 Depth=2
	global_store_dword v0, v2, s[16:17]
	s_add_u32 s16, s14, -1
	s_addc_u32 s17, s15, -1
	s_cmp_lt_i32 s14, 2
	s_mov_b64 s[18:19], 0
	s_cselect_b64 s[20:21], -1, 0
	s_mov_b64 s[14:15], s[16:17]
	s_mov_b64 s[16:17], s[22:23]
	s_andn2_b64 vcc, exec, s[20:21]
	s_cbranch_vccz .LBB13_211
.LBB13_214:                             ;   Parent Loop BB13_212 Depth=1
                                        ; =>  This Inner Loop Header: Depth=2
	global_load_dword v2, v0, s[16:17] offset:-4
	s_add_u32 s22, s16, -4
	s_addc_u32 s23, s17, -1
	s_mov_b64 s[20:21], -1
	s_waitcnt vmcnt(0)
	v_cmp_nlt_f32_e32 vcc, v2, v1
	s_cbranch_vccz .LBB13_213
; %bb.215:                              ;   in Loop: Header=BB13_214 Depth=2
                                        ; implicit-def: $sgpr16_sgpr17
	s_mov_b64 s[18:19], s[14:15]
	s_andn2_b64 vcc, exec, s[20:21]
	s_cbranch_vccnz .LBB13_214
	s_branch .LBB13_211
.LBB13_216:
	s_or_b64 exec, exec, s[6:7]
	s_cmp_lt_i32 s48, 2
	s_cselect_b64 s[10:11], -1, 0
	s_mov_b64 s[58:59], 0
	s_and_b64 vcc, exec, s[10:11]
	s_barrier
	s_cbranch_vccnz .LBB13_224
; %bb.217:
	s_add_i32 s20, s48, -1
	v_cmp_gt_u32_e32 vcc, s20, v41
	s_mov_b64 s[10:11], -1
	s_mov_b64 s[6:7], 0
	s_and_saveexec_b64 s[8:9], vcc
	s_cbranch_execz .LBB13_226
; %bb.218:
	s_add_u32 s21, s36, 4
	s_addc_u32 s22, s37, 0
	s_mov_b64 s[10:11], 0
	v_mov_b32_e32 v1, 0
	v_mov_b32_e32 v2, s37
	v_mov_b32_e32 v0, v41
                                        ; implicit-def: $sgpr12_sgpr13
	s_branch .LBB13_220
.LBB13_219:                             ;   in Loop: Header=BB13_220 Depth=1
	s_or_b64 exec, exec, s[18:19]
	s_xor_b64 s[14:15], s[14:15], -1
	s_and_b64 s[6:7], exec, s[6:7]
	s_or_b64 s[10:11], s[6:7], s[10:11]
	s_andn2_b64 s[6:7], s[12:13], exec
	s_and_b64 s[12:13], s[14:15], exec
	s_or_b64 s[12:13], s[6:7], s[12:13]
	s_andn2_b64 exec, exec, s[10:11]
	s_cbranch_execz .LBB13_225
.LBB13_220:                             ; =>This Inner Loop Header: Depth=1
	v_lshlrev_b64 v[4:5], 2, v[0:1]
	v_add_co_u32_e32 v4, vcc, s36, v4
	v_addc_co_u32_e32 v5, vcc, v2, v5, vcc
	global_load_dword v3, v[4:5], off
                                        ; implicit-def: $sgpr14_sgpr15
	s_waitcnt vmcnt(0)
	v_cmp_u_f32_e64 s[16:17], v3, v3
	v_cmp_o_f32_e32 vcc, v3, v3
	s_and_saveexec_b64 s[18:19], vcc
	s_cbranch_execz .LBB13_222
; %bb.221:                              ;   in Loop: Header=BB13_220 Depth=1
	v_ashrrev_i32_e32 v5, 31, v0
	v_mov_b32_e32 v4, v0
	v_lshlrev_b64 v[4:5], 2, v[4:5]
	v_mov_b32_e32 v6, s22
	v_add_co_u32_e32 v4, vcc, s21, v4
	v_addc_co_u32_e32 v5, vcc, v6, v5, vcc
	global_load_dword v4, v[4:5], off
	s_andn2_b64 s[16:17], s[16:17], exec
	s_mov_b64 s[14:15], -1
	s_waitcnt vmcnt(0)
	v_cmp_u_f32_e32 vcc, v4, v4
	v_cmp_ge_f32_e64 s[6:7], v3, v4
	s_or_b64 s[6:7], vcc, s[6:7]
	s_and_b64 s[6:7], s[6:7], exec
	s_or_b64 s[16:17], s[16:17], s[6:7]
.LBB13_222:                             ;   in Loop: Header=BB13_220 Depth=1
	s_or_b64 exec, exec, s[18:19]
	s_mov_b64 s[6:7], -1
	s_and_saveexec_b64 s[18:19], s[16:17]
	s_cbranch_execz .LBB13_219
; %bb.223:                              ;   in Loop: Header=BB13_220 Depth=1
	v_add_u32_e32 v0, s60, v0
	v_cmp_le_u32_e32 vcc, s20, v0
	s_andn2_b64 s[14:15], s[14:15], exec
	s_orn2_b64 s[6:7], vcc, exec
	s_branch .LBB13_219
.LBB13_224:
	s_mov_b64 s[6:7], 0
	s_branch .LBB13_227
.LBB13_225:
	s_or_b64 exec, exec, s[10:11]
	s_mov_b64 s[6:7], exec
	s_orn2_b64 s[10:11], s[12:13], exec
.LBB13_226:
	s_or_b64 exec, exec, s[8:9]
.LBB13_227:
	s_and_saveexec_b64 s[8:9], s[10:11]
	s_cbranch_execz .LBB13_229
; %bb.228:
	s_mov_b64 s[58:59], exec
	s_barrier
	s_andn2_b64 s[6:7], s[6:7], exec
.LBB13_229:
	s_or_b64 exec, exec, s[8:9]
	s_and_saveexec_b64 s[40:41], s[6:7]
	s_cbranch_execz .LBB13_231
; %bb.230:
	s_add_u32 s8, s4, 0x90
	s_addc_u32 s9, s5, 0
	s_getpc_b64 s[4:5]
	s_add_u32 s4, s4, __PRETTY_FUNCTION__._ZN9rocsolver6v33100L21shell_sort_descendingIfiEEvT0_PT_PS2_@rel32@lo+4
	s_addc_u32 s5, s5, __PRETTY_FUNCTION__._ZN9rocsolver6v33100L21shell_sort_descendingIfiEEvT0_PT_PS2_@rel32@hi+12
	v_mov_b32_e32 v0, s4
	v_mov_b32_e32 v1, s5
	s_getpc_b64 s[6:7]
	s_add_u32 s6, s6, __assert_fail@rel32@lo+4
	s_addc_u32 s7, s7, __assert_fail@rel32@hi+12
	s_swappc_b64 s[30:31], s[6:7]
	s_or_b64 s[62:63], s[62:63], exec
.LBB13_231:
	s_or_b64 exec, exec, s[40:41]
.LBB13_232:
	s_and_saveexec_b64 s[4:5], s[62:63]
; %bb.233:
	; divergent unreachable
; %bb.234:
	s_or_b64 exec, exec, s[4:5]
	s_and_saveexec_b64 s[4:5], s[58:59]
	s_cbranch_execz .LBB13_236
; %bb.235:
	s_barrier
.LBB13_236:
	s_or_b64 exec, exec, s[4:5]
	s_cbranch_execnz .LBB13_260
.LBB13_237:
	s_cmp_lt_i32 s48, 2
	s_cbranch_scc1 .LBB13_260
; %bb.238:
	s_cmp_lg_u32 s49, 0
	s_cselect_b64 s[12:13], -1, 0
	s_cmp_lg_u32 s50, 0
	s_cselect_b64 s[14:15], -1, 0
	;; [unrolled: 2-line block ×3, first 2 shown]
	s_add_i32 s33, s48, -2
	s_add_u32 s18, s54, s52
	v_cndmask_b32_e64 v3, 0, 1, s[12:13]
	s_addc_u32 s21, s55, s53
	v_cmp_ne_u32_e64 s[12:13], 1, v3
	v_cndmask_b32_e64 v3, 0, 1, s[14:15]
	s_add_u32 s20, s18, 4
	v_cmp_ne_u32_e64 s[14:15], 1, v3
	v_cndmask_b32_e64 v3, 0, 1, s[16:17]
	s_mov_b32 s19, 0
	v_cmp_eq_u32_e64 s[4:5], 0, v41
	v_cmp_gt_i32_e64 s[6:7], s49, v41
	v_cmp_gt_i32_e64 s[8:9], s50, v41
	;; [unrolled: 1-line block ×3, first 2 shown]
	s_addc_u32 s21, s21, 0
	v_mul_lo_u32 v0, s47, v41
	s_mul_i32 s40, s47, s42
	v_mul_lo_u32 v1, s61, v41
	s_mul_i32 s41, s61, s42
	v_mov_b32_e32 v2, 0
	v_cmp_ne_u32_e64 s[16:17], 1, v3
	s_mov_b32 s47, 0
	s_mov_b32 s52, 0
	s_branch .LBB13_241
.LBB13_239:                             ;   in Loop: Header=BB13_241 Depth=1
	s_or_b64 exec, exec, s[24:25]
	s_waitcnt lgkmcnt(0)
	s_barrier
.LBB13_240:                             ;   in Loop: Header=BB13_241 Depth=1
	s_add_u32 s20, s20, 4
	s_addc_u32 s21, s21, 0
	s_add_i32 s47, s47, s43
	s_cmp_eq_u32 s18, s33
	s_cbranch_scc1 .LBB13_260
.LBB13_241:                             ; =>This Loop Header: Depth=1
                                        ;     Child Loop BB13_242 Depth 2
                                        ;     Child Loop BB13_249 Depth 2
	;; [unrolled: 1-line block ×4, first 2 shown]
	s_mov_b32 s18, s52
	s_lshl_b64 s[22:23], s[18:19], 2
	s_add_u32 s24, s36, s22
	s_addc_u32 s25, s37, s23
	global_load_dword v3, v2, s[24:25]
	s_add_i32 s52, s52, 1
	s_mov_b64 s[30:31], s[20:21]
	s_mov_b32 s23, s52
	s_mov_b32 s22, s18
.LBB13_242:                             ;   Parent Loop BB13_241 Depth=1
                                        ; =>  This Inner Loop Header: Depth=2
	global_load_dword v4, v2, s[30:31]
	s_waitcnt vmcnt(0)
	v_cmp_gt_f32_e32 vcc, v4, v3
	s_and_b64 s[54:55], vcc, exec
	s_cselect_b32 s22, s23, s22
	s_add_i32 s23, s23, 1
	s_add_u32 s30, s30, 4
	s_addc_u32 s31, s31, 0
	v_cndmask_b32_e32 v3, v3, v4, vcc
	s_cmp_lt_i32 s23, s48
	s_cbranch_scc1 .LBB13_242
; %bb.243:                              ;   in Loop: Header=BB13_241 Depth=1
	s_cmp_eq_u32 s22, s18
	s_barrier
	s_cbranch_scc1 .LBB13_240
; %bb.244:                              ;   in Loop: Header=BB13_241 Depth=1
	s_and_saveexec_b64 s[30:31], s[4:5]
	s_cbranch_execz .LBB13_246
; %bb.245:                              ;   in Loop: Header=BB13_241 Depth=1
	global_load_dword v4, v2, s[24:25]
	s_ashr_i32 s23, s22, 31
	s_lshl_b64 s[54:55], s[22:23], 2
	s_add_u32 s54, s36, s54
	s_addc_u32 s55, s37, s55
	s_waitcnt vmcnt(0)
	global_store_dword v2, v4, s[54:55]
	global_store_dword v2, v3, s[24:25]
.LBB13_246:                             ;   in Loop: Header=BB13_241 Depth=1
	s_or_b64 exec, exec, s[30:31]
	s_and_b64 vcc, exec, s[12:13]
	s_cbranch_vccnz .LBB13_251
; %bb.247:                              ;   in Loop: Header=BB13_241 Depth=1
	s_and_saveexec_b64 s[24:25], s[6:7]
	s_cbranch_execz .LBB13_250
; %bb.248:                              ;   in Loop: Header=BB13_241 Depth=1
	s_mov_b64 s[30:31], 0
	v_mov_b32_e32 v3, v0
	v_mov_b32_e32 v4, v41
.LBB13_249:                             ;   Parent Loop BB13_241 Depth=1
                                        ; =>  This Inner Loop Header: Depth=2
	v_add_u32_e32 v6, s22, v3
	v_ashrrev_i32_e32 v7, 31, v6
	v_add_u32_e32 v8, s18, v3
	v_lshlrev_b64 v[6:7], 2, v[6:7]
	v_mov_b32_e32 v5, s35
	v_ashrrev_i32_e32 v9, 31, v8
	v_add_co_u32_e32 v6, vcc, s34, v6
	v_lshlrev_b64 v[8:9], 2, v[8:9]
	v_addc_co_u32_e32 v7, vcc, v5, v7, vcc
	v_add_co_u32_e32 v8, vcc, s34, v8
	v_addc_co_u32_e32 v9, vcc, v5, v9, vcc
	flat_load_dword v5, v[8:9]
	flat_load_dword v10, v[6:7]
	v_add_u32_e32 v4, s42, v4
	v_cmp_le_i32_e32 vcc, s49, v4
	v_add_u32_e32 v3, s40, v3
	s_or_b64 s[30:31], vcc, s[30:31]
	s_waitcnt vmcnt(0) lgkmcnt(0)
	flat_store_dword v[6:7], v5
	flat_store_dword v[8:9], v10
	s_andn2_b64 exec, exec, s[30:31]
	s_cbranch_execnz .LBB13_249
.LBB13_250:                             ;   in Loop: Header=BB13_241 Depth=1
	s_or_b64 exec, exec, s[24:25]
	s_waitcnt lgkmcnt(0)
	s_barrier
.LBB13_251:                             ;   in Loop: Header=BB13_241 Depth=1
	s_and_b64 vcc, exec, s[14:15]
	s_cbranch_vccnz .LBB13_256
; %bb.252:                              ;   in Loop: Header=BB13_241 Depth=1
	s_and_saveexec_b64 s[24:25], s[8:9]
	s_cbranch_execz .LBB13_255
; %bb.253:                              ;   in Loop: Header=BB13_241 Depth=1
	s_mul_i32 s23, s22, s43
	s_mov_b64 s[30:31], 0
	v_mov_b32_e32 v3, v41
.LBB13_254:                             ;   Parent Loop BB13_241 Depth=1
                                        ; =>  This Inner Loop Header: Depth=2
	v_add_u32_e32 v4, s23, v3
	v_ashrrev_i32_e32 v5, 31, v4
	v_add_u32_e32 v6, s47, v3
	v_lshlrev_b64 v[4:5], 2, v[4:5]
	v_mov_b32_e32 v8, s29
	v_ashrrev_i32_e32 v7, 31, v6
	v_add_co_u32_e32 v4, vcc, s28, v4
	v_lshlrev_b64 v[6:7], 2, v[6:7]
	v_addc_co_u32_e32 v5, vcc, v8, v5, vcc
	v_add_co_u32_e32 v6, vcc, s28, v6
	v_addc_co_u32_e32 v7, vcc, v8, v7, vcc
	flat_load_dword v8, v[6:7]
	flat_load_dword v9, v[4:5]
	v_add_u32_e32 v3, s42, v3
	v_cmp_le_i32_e32 vcc, s50, v3
	s_or_b64 s[30:31], vcc, s[30:31]
	s_waitcnt vmcnt(0) lgkmcnt(0)
	flat_store_dword v[4:5], v8
	flat_store_dword v[6:7], v9
	s_andn2_b64 exec, exec, s[30:31]
	s_cbranch_execnz .LBB13_254
.LBB13_255:                             ;   in Loop: Header=BB13_241 Depth=1
	s_or_b64 exec, exec, s[24:25]
	s_waitcnt lgkmcnt(0)
	s_barrier
.LBB13_256:                             ;   in Loop: Header=BB13_241 Depth=1
	s_and_b64 vcc, exec, s[16:17]
	s_cbranch_vccnz .LBB13_240
; %bb.257:                              ;   in Loop: Header=BB13_241 Depth=1
	s_and_saveexec_b64 s[24:25], s[10:11]
	s_cbranch_execz .LBB13_239
; %bb.258:                              ;   in Loop: Header=BB13_241 Depth=1
	s_mov_b64 s[30:31], 0
	v_mov_b32_e32 v3, v1
	v_mov_b32_e32 v4, v41
.LBB13_259:                             ;   Parent Loop BB13_241 Depth=1
                                        ; =>  This Inner Loop Header: Depth=2
	v_add_u32_e32 v6, s22, v3
	v_ashrrev_i32_e32 v7, 31, v6
	v_add_u32_e32 v8, s18, v3
	v_lshlrev_b64 v[6:7], 2, v[6:7]
	v_mov_b32_e32 v5, s45
	v_ashrrev_i32_e32 v9, 31, v8
	v_add_co_u32_e32 v6, vcc, s44, v6
	v_lshlrev_b64 v[8:9], 2, v[8:9]
	v_addc_co_u32_e32 v7, vcc, v5, v7, vcc
	v_add_co_u32_e32 v8, vcc, s44, v8
	v_addc_co_u32_e32 v9, vcc, v5, v9, vcc
	flat_load_dword v5, v[8:9]
	flat_load_dword v10, v[6:7]
	v_add_u32_e32 v4, s42, v4
	v_cmp_le_i32_e32 vcc, s51, v4
	v_add_u32_e32 v3, s41, v3
	s_or_b64 s[30:31], vcc, s[30:31]
	s_waitcnt vmcnt(0) lgkmcnt(0)
	flat_store_dword v[6:7], v5
	flat_store_dword v[8:9], v10
	s_andn2_b64 exec, exec, s[30:31]
	s_cbranch_execnz .LBB13_259
	s_branch .LBB13_239
.LBB13_260:
	s_mov_b64 s[6:7], 0
.LBB13_261:
	s_andn2_b64 vcc, exec, s[6:7]
	s_cbranch_vccnz .LBB13_264
; %bb.262:
	v_cmp_eq_u32_e32 vcc, 0, v41
	s_and_saveexec_b64 s[4:5], vcc
	s_cbranch_execz .LBB13_264
; %bb.263:
	s_add_u32 s4, s38, s26
	s_addc_u32 s5, s39, s27
	v_mov_b32_e32 v0, 0
	v_mov_b32_e32 v1, s46
	global_store_dword v0, v1, s[4:5]
.LBB13_264:
	s_endpgm
	.section	.rodata,"a",@progbits
	.p2align	6, 0x0
	.amdhsa_kernel _ZN9rocsolver6v33100L14bdsqr_finalizeIffPfS2_S2_EEviiiiPT0_lS4_lT1_iilT2_iilT3_iilPiS8_S8_
		.amdhsa_group_segment_fixed_size 0
		.amdhsa_private_segment_fixed_size 64
		.amdhsa_kernarg_size 400
		.amdhsa_user_sgpr_count 8
		.amdhsa_user_sgpr_private_segment_buffer 1
		.amdhsa_user_sgpr_dispatch_ptr 0
		.amdhsa_user_sgpr_queue_ptr 0
		.amdhsa_user_sgpr_kernarg_segment_ptr 1
		.amdhsa_user_sgpr_dispatch_id 0
		.amdhsa_user_sgpr_flat_scratch_init 1
		.amdhsa_user_sgpr_kernarg_preload_length 0
		.amdhsa_user_sgpr_kernarg_preload_offset 0
		.amdhsa_user_sgpr_private_segment_size 0
		.amdhsa_uses_dynamic_stack 0
		.amdhsa_system_sgpr_private_segment_wavefront_offset 1
		.amdhsa_system_sgpr_workgroup_id_x 1
		.amdhsa_system_sgpr_workgroup_id_y 1
		.amdhsa_system_sgpr_workgroup_id_z 0
		.amdhsa_system_sgpr_workgroup_info 0
		.amdhsa_system_vgpr_workitem_id 2
		.amdhsa_next_free_vgpr 45
		.amdhsa_next_free_sgpr 78
		.amdhsa_accum_offset 48
		.amdhsa_reserve_vcc 1
		.amdhsa_reserve_flat_scratch 1
		.amdhsa_float_round_mode_32 0
		.amdhsa_float_round_mode_16_64 0
		.amdhsa_float_denorm_mode_32 3
		.amdhsa_float_denorm_mode_16_64 3
		.amdhsa_dx10_clamp 1
		.amdhsa_ieee_mode 1
		.amdhsa_fp16_overflow 0
		.amdhsa_tg_split 0
		.amdhsa_exception_fp_ieee_invalid_op 0
		.amdhsa_exception_fp_denorm_src 0
		.amdhsa_exception_fp_ieee_div_zero 0
		.amdhsa_exception_fp_ieee_overflow 0
		.amdhsa_exception_fp_ieee_underflow 0
		.amdhsa_exception_fp_ieee_inexact 0
		.amdhsa_exception_int_div_zero 0
	.end_amdhsa_kernel
	.section	.text._ZN9rocsolver6v33100L14bdsqr_finalizeIffPfS2_S2_EEviiiiPT0_lS4_lT1_iilT2_iilT3_iilPiS8_S8_,"axG",@progbits,_ZN9rocsolver6v33100L14bdsqr_finalizeIffPfS2_S2_EEviiiiPT0_lS4_lT1_iilT2_iilT3_iilPiS8_S8_,comdat
.Lfunc_end13:
	.size	_ZN9rocsolver6v33100L14bdsqr_finalizeIffPfS2_S2_EEviiiiPT0_lS4_lT1_iilT2_iilT3_iilPiS8_S8_, .Lfunc_end13-_ZN9rocsolver6v33100L14bdsqr_finalizeIffPfS2_S2_EEviiiiPT0_lS4_lT1_iilT2_iilT3_iilPiS8_S8_
                                        ; -- End function
	.section	.AMDGPU.csdata,"",@progbits
; Kernel info:
; codeLenInByte = 7708
; NumSgprs: 84
; NumVgprs: 45
; NumAgprs: 0
; TotalNumVgprs: 45
; ScratchSize: 64
; MemoryBound: 0
; FloatMode: 240
; IeeeMode: 1
; LDSByteSize: 0 bytes/workgroup (compile time only)
; SGPRBlocks: 10
; VGPRBlocks: 5
; NumSGPRsForWavesPerEU: 84
; NumVGPRsForWavesPerEU: 45
; AccumOffset: 48
; Occupancy: 8
; WaveLimiterHint : 1
; COMPUTE_PGM_RSRC2:SCRATCH_EN: 1
; COMPUTE_PGM_RSRC2:USER_SGPR: 8
; COMPUTE_PGM_RSRC2:TRAP_HANDLER: 0
; COMPUTE_PGM_RSRC2:TGID_X_EN: 1
; COMPUTE_PGM_RSRC2:TGID_Y_EN: 1
; COMPUTE_PGM_RSRC2:TGID_Z_EN: 0
; COMPUTE_PGM_RSRC2:TIDIG_COMP_CNT: 2
; COMPUTE_PGM_RSRC3_GFX90A:ACCUM_OFFSET: 11
; COMPUTE_PGM_RSRC3_GFX90A:TG_SPLIT: 0
	.section	.text._ZN9rocsolver6v33100L10bdsqr_initIddEEviPT0_lS3_lPiiS2_S2_S4_S3_lS4_,"axG",@progbits,_ZN9rocsolver6v33100L10bdsqr_initIddEEviPT0_lS3_lPiiS2_S2_S4_S3_lS4_,comdat
	.globl	_ZN9rocsolver6v33100L10bdsqr_initIddEEviPT0_lS3_lPiiS2_S2_S4_S3_lS4_ ; -- Begin function _ZN9rocsolver6v33100L10bdsqr_initIddEEviPT0_lS3_lPiiS2_S2_S4_S3_lS4_
	.p2align	8
	.type	_ZN9rocsolver6v33100L10bdsqr_initIddEEviPT0_lS3_lPiiS2_S2_S4_S3_lS4_,@function
_ZN9rocsolver6v33100L10bdsqr_initIddEEviPT0_lS3_lPiiS2_S2_S4_S3_lS4_: ; @_ZN9rocsolver6v33100L10bdsqr_initIddEEviPT0_lS3_lPiiS2_S2_S4_S3_lS4_
; %bb.0:
	s_load_dword s6, s[4:5], 0x0
	s_load_dwordx8 s[8:15], s[4:5], 0x8
	s_mov_b32 s16, s7
	s_ashr_i32 s17, s7, 31
	s_waitcnt lgkmcnt(0)
	s_ashr_i32 s7, s6, 31
	s_mul_i32 s0, s16, s11
	s_mul_hi_u32 s1, s16, s10
	s_add_i32 s0, s1, s0
	s_mul_i32 s1, s17, s10
	s_add_i32 s1, s0, s1
	s_mul_i32 s0, s16, s10
	s_lshl_b64 s[0:1], s[0:1], 3
	s_add_u32 s18, s8, s0
	s_addc_u32 s19, s9, s1
	s_mul_i32 s0, s16, s15
	s_mul_hi_u32 s1, s16, s14
	s_add_i32 s0, s1, s0
	s_mul_i32 s1, s17, s14
	s_add_i32 s1, s0, s1
	s_mul_i32 s0, s16, s14
	s_lshl_b64 s[0:1], s[0:1], 3
	s_add_u32 s22, s12, s0
	s_addc_u32 s23, s13, s1
	s_lshl_b64 s[0:1], s[6:7], 3
	s_add_u32 s20, s18, s0
	s_addc_u32 s21, s19, s1
	s_add_u32 s0, s20, -8
	s_addc_u32 s1, s21, -1
	s_load_dwordx2 s[2:3], s[0:1], 0x0
	s_load_dwordx2 s[8:9], s[18:19], 0x0
	;; [unrolled: 1-line block ×3, first 2 shown]
	v_cmp_lt_i64_e64 s[10:11], s[6:7], 2
	v_cmp_gt_i64_e64 s[26:27], s[6:7], 1
	s_waitcnt lgkmcnt(0)
	v_pk_mov_b32 v[0:1], s[2:3], s[2:3] op_sel:[0,1]
	v_cmp_ge_f64_e64 s[0:1], s[8:9], v[0:1]
	s_and_b64 s[12:13], s[0:1], exec
	s_cselect_b32 s3, s9, s3
	s_cselect_b32 s2, s8, s2
	s_bitset0_b32 s3, 31
	s_and_b64 vcc, exec, s[10:11]
	v_pk_mov_b32 v[0:1], s[2:3], s[2:3] op_sel:[0,1]
	s_cbranch_vccnz .LBB14_3
; %bb.1:
	s_add_i32 s7, s6, -2
	s_mov_b32 s8, 1
	v_pk_mov_b32 v[0:1], s[2:3], s[2:3] op_sel:[0,1]
	v_pk_mov_b32 v[2:3], s[2:3], s[2:3] op_sel:[0,1]
.LBB14_2:                               ; =>This Inner Loop Header: Depth=1
	s_and_b64 s[2:3], s[0:1], exec
	s_cselect_b32 s2, s8, s7
	s_add_i32 s3, s8, -1
	s_and_b64 s[10:11], s[0:1], exec
	s_cselect_b32 s10, s3, s7
	s_ashr_i32 s11, s10, 31
	s_lshl_b64 s[10:11], s[10:11], 3
	s_add_u32 s10, s22, s10
	s_addc_u32 s11, s23, s11
	s_load_dwordx2 s[10:11], s[10:11], 0x0
	s_ashr_i32 s3, s2, 31
	s_lshl_b64 s[2:3], s[2:3], 3
	s_add_u32 s2, s18, s2
	s_addc_u32 s3, s19, s3
	s_waitcnt lgkmcnt(0)
	v_add_f64 v[4:5], v[2:3], |s[10:11]|
	v_div_scale_f64 v[6:7], s[10:11], v[4:5], v[4:5], v[2:3]
	v_rcp_f64_e32 v[8:9], v[6:7]
	s_load_dwordx2 s[2:3], s[2:3], 0x0
	v_div_scale_f64 v[10:11], vcc, v[2:3], v[4:5], v[2:3]
	v_fma_f64 v[12:13], -v[6:7], v[8:9], 1.0
	v_fmac_f64_e32 v[8:9], v[8:9], v[12:13]
	v_fma_f64 v[12:13], -v[6:7], v[8:9], 1.0
	v_fmac_f64_e32 v[8:9], v[8:9], v[12:13]
	v_mul_f64 v[12:13], v[10:11], v[8:9]
	v_fma_f64 v[6:7], -v[6:7], v[12:13], v[10:11]
	v_div_fmas_f64 v[6:7], v[6:7], v[8:9], v[12:13]
	v_div_fixup_f64 v[2:3], v[6:7], v[4:5], v[2:3]
	s_waitcnt lgkmcnt(0)
	v_mul_f64 v[2:3], |s[2:3]|, v[2:3]
	s_add_i32 s7, s7, -1
	s_add_i32 s8, s8, 1
	v_cmp_lt_f64_e32 vcc, v[2:3], v[0:1]
	s_cmp_lg_u32 s8, s6
	v_cndmask_b32_e32 v1, v1, v3, vcc
	v_cndmask_b32_e32 v0, v0, v2, vcc
	s_cbranch_scc1 .LBB14_2
.LBB14_3:
	s_load_dwordx8 s[8:15], s[4:5], 0x38
	s_load_dwordx4 s[0:3], s[4:5], 0x58
	s_lshl_b32 s31, s6, 1
	s_mul_i32 s28, s31, s16
	s_ashr_i32 s29, s28, 31
	s_lshl_b64 s[34:35], s[28:29], 2
	s_waitcnt lgkmcnt(0)
	s_add_u32 s29, s12, s34
	s_addc_u32 s30, s13, s35
	s_mov_b32 s34, 0
	v_cvt_f64_i32_e32 v[2:3], s6
	s_brev_b32 s35, 8
	v_cmp_gt_f64_e32 vcc, s[34:35], v[2:3]
	v_cndmask_b32_e64 v4, 0, 1, vcc
	v_lshlrev_b32_e32 v4, 8, v4
	v_ldexp_f64 v[2:3], v[2:3], v4
	v_rsq_f64_e32 v[4:5], v[2:3]
	s_mul_i32 s1, s16, s1
	s_mul_hi_u32 s7, s16, s0
	s_add_i32 s1, s7, s1
	s_mul_i32 s7, s17, s0
	v_mul_f64 v[8:9], v[2:3], v[4:5]
	v_mul_f64 v[4:5], v[4:5], 0.5
	s_add_i32 s1, s1, s7
	s_mul_i32 s0, s16, s0
	v_fma_f64 v[10:11], -v[4:5], v[8:9], 0.5
	s_lshl_b64 s[0:1], s[0:1], 3
	v_fmac_f64_e32 v[8:9], v[8:9], v[10:11]
	s_add_u32 s12, s14, s0
	v_fma_f64 v[12:13], -v[8:9], v[8:9], v[2:3]
	v_fmac_f64_e32 v[4:5], v[4:5], v[10:11]
	s_addc_u32 s13, s15, s1
	s_add_i32 s7, s6, -1
	v_fmac_f64_e32 v[8:9], v[12:13], v[4:5]
	v_fma_f64 v[10:11], -v[8:9], v[8:9], v[2:3]
	s_and_b64 s[0:1], vcc, exec
	v_fmac_f64_e32 v[8:9], v[10:11], v[4:5]
	s_cselect_b32 s0, 0xffffff80, 0
	v_ldexp_f64 v[4:5], v[8:9], s0
	v_mov_b32_e32 v8, 0x260
	v_cmp_class_f64_e32 vcc, v[2:3], v8
	v_mul_f64 v[6:7], v[0:1], s[10:11]
	v_cndmask_b32_e32 v3, v5, v3, vcc
	v_cndmask_b32_e32 v2, v4, v2, vcc
	v_div_scale_f64 v[8:9], s[0:1], v[2:3], v[2:3], v[6:7]
	v_rcp_f64_e32 v[10:11], v[8:9]
	s_load_dword s0, s[4:5], 0x30
	v_mov_b32_e32 v4, 0
	s_mov_b32 s28, 0
	v_fma_f64 v[12:13], -v[8:9], v[10:11], 1.0
	v_fmac_f64_e32 v[10:11], v[10:11], v[12:13]
	v_fma_f64 v[12:13], -v[8:9], v[10:11], 1.0
	v_fmac_f64_e32 v[10:11], v[10:11], v[12:13]
	v_div_scale_f64 v[12:13], vcc, v[6:7], v[2:3], v[6:7]
	v_mul_f64 v[14:15], v[12:13], v[10:11]
	v_fma_f64 v[8:9], -v[8:9], v[14:15], v[12:13]
	s_mov_b64 s[4:5], 0
	s_nop 0
	v_div_fmas_f64 v[8:9], v[8:9], v[10:11], v[14:15]
	v_div_fixup_f64 v[2:3], v[8:9], v[2:3], v[6:7]
	s_waitcnt lgkmcnt(0)
	v_cvt_f64_i32_e32 v[6:7], s0
	v_mul_f64 v[6:7], v[6:7], s[8:9]
	v_cmp_lt_f64_e32 vcc, v[2:3], v[6:7]
	v_cndmask_b32_e32 v3, v3, v7, vcc
	v_cndmask_b32_e32 v2, v2, v6, vcc
	global_store_dwordx4 v4, v[0:3], s[12:13]
	s_andn2_b64 vcc, exec, s[26:27]
	v_cndmask_b32_e64 v0, 0, 1, s[26:27]
	v_cmp_ne_u32_e64 s[0:1], 1, v0
	s_mov_b32 s8, 0
	s_cbranch_vccnz .LBB14_20
; %bb.4:
	s_add_u32 s33, s29, 4
	s_mov_b32 s11, 0
	s_addc_u32 s34, s30, 0
	s_movk_i32 s35, 0x1f8
	s_mov_b32 s8, s11
	s_mov_b32 s10, s11
	s_lshl_b32 s14, s10, 2
	s_or_b32 s9, s14, 3
	s_cmp_ge_i32 s9, s31
	s_cbranch_scc1 .LBB14_6
.LBB14_5:
	s_mov_b32 s15, s11
	s_lshl_b64 s[14:15], s[14:15], 2
	s_add_u32 s14, s29, s14
	s_addc_u32 s15, s30, s15
	v_mov_b32_e32 v5, v4
	v_mov_b32_e32 v6, v4
	;; [unrolled: 1-line block ×3, first 2 shown]
	global_store_dwordx4 v4, v[4:7], s[14:15]
	s_waitcnt vmcnt(0)
	buffer_wbinvl1_vol
.LBB14_6:                               ; =>This Inner Loop Header: Depth=1
	s_lshl_b64 s[14:15], s[10:11], 3
	s_add_u32 s26, s18, s14
	s_addc_u32 s27, s19, s15
	global_load_dwordx2 v[6:7], v4, s[26:27]
	s_add_u32 s14, s22, s14
	s_addc_u32 s15, s23, s15
	global_load_dwordx2 v[0:1], v4, s[14:15]
	s_waitcnt vmcnt(1)
	v_cmp_class_f64_e64 s[26:27], v[6:7], s35
	s_and_b64 vcc, exec, s[26:27]
	s_cbranch_vccz .LBB14_19
; %bb.7:                                ;   in Loop: Header=BB14_6 Depth=1
	s_waitcnt vmcnt(0)
	v_cmp_class_f64_e64 s[26:27], v[0:1], s35
	s_and_b64 vcc, exec, s[26:27]
	s_cbranch_vccnz .LBB14_9
; %bb.8:                                ;   in Loop: Header=BB14_6 Depth=1
	s_mov_b64 s[4:5], -1
.LBB14_9:                               ;   in Loop: Header=BB14_6 Depth=1
	v_and_b32_e32 v7, 0x7fffffff, v1
	v_mov_b32_e32 v6, v0
	s_cbranch_execnz .LBB14_11
.LBB14_10:                              ;   in Loop: Header=BB14_6 Depth=1
	s_waitcnt vmcnt(0)
	v_and_b32_e32 v1, 0x7fffffff, v1
	s_mov_b64 s[4:5], -1
	v_pk_mov_b32 v[6:7], v[0:1], v[0:1] op_sel:[0,1]
.LBB14_11:                              ;   in Loop: Header=BB14_6 Depth=1
	v_cmp_lt_f64_e32 vcc, v[6:7], v[2:3]
	s_mov_b64 s[26:27], -1
                                        ; implicit-def: $sgpr9
	s_cbranch_vccz .LBB14_14
; %bb.12:                               ;   in Loop: Header=BB14_6 Depth=1
	s_andn2_b64 vcc, exec, s[26:27]
	s_cbranch_vccz .LBB14_15
.LBB14_13:                              ;   in Loop: Header=BB14_6 Depth=1
	s_cmp_eq_u32 s9, s7
	s_cbranch_scc0 .LBB14_18
	s_branch .LBB14_20
.LBB14_14:                              ;   in Loop: Header=BB14_6 Depth=1
	s_add_i32 s9, s10, 1
	s_cbranch_execnz .LBB14_13
.LBB14_15:                              ;   in Loop: Header=BB14_6 Depth=1
	v_mov_b32_e32 v5, v4
	s_cmp_ge_i32 s8, s10
	global_store_dwordx2 v4, v[4:5], s[14:15]
	s_cbranch_scc1 .LBB14_17
; %bb.16:                               ;   in Loop: Header=BB14_6 Depth=1
	s_lshl_b32 s14, s28, 2
	s_ashr_i32 s15, s14, 31
	s_lshl_b64 s[14:15], s[14:15], 2
	s_mov_b32 s9, s10
	s_add_u32 s14, s33, s14
	s_addc_u32 s15, s34, s15
	s_waitcnt vmcnt(1)
	v_pk_mov_b32 v[0:1], s[8:9], s[8:9] op_sel:[0,1]
	s_add_i32 s28, s28, 1
	global_store_dwordx2 v4, v[0:1], s[14:15]
.LBB14_17:                              ;   in Loop: Header=BB14_6 Depth=1
	s_add_i32 s9, s10, 1
	s_mov_b32 s8, s9
	s_cmp_eq_u32 s9, s7
	s_cbranch_scc1 .LBB14_20
.LBB14_18:                              ;   in Loop: Header=BB14_6 Depth=1
	s_mov_b32 s10, s9
	s_lshl_b32 s14, s10, 2
	s_or_b32 s9, s14, 3
	s_cmp_ge_i32 s9, s31
	s_cbranch_scc0 .LBB14_5
	s_branch .LBB14_6
.LBB14_19:                              ;   in Loop: Header=BB14_6 Depth=1
                                        ; implicit-def: $sgpr4_sgpr5
                                        ; implicit-def: $vgpr6_vgpr7
	s_branch .LBB14_10
.LBB14_20:
	v_mov_b32_e32 v2, 0
	global_load_dwordx2 v[0:1], v2, s[20:21] offset:-8
	s_cmp_lt_i32 s8, s7
	s_cbranch_scc0 .LBB14_22
; %bb.21:
	s_lshl_b32 s10, s28, 2
	s_ashr_i32 s11, s10, 31
	s_lshl_b64 s[10:11], s[10:11], 2
	s_add_u32 s10, s29, s10
	s_addc_u32 s11, s30, s11
	v_mov_b32_e32 v4, s8
	v_mov_b32_e32 v5, s7
	global_store_dwordx2 v2, v[4:5], s[10:11] offset:4
.LBB14_22:
	s_mov_b32 s8, 0
	s_mov_b32 s9, 0x7ff00000
	s_waitcnt vmcnt(0)
	v_cmp_nlg_f64_e64 s[8:9], |v[0:1]|, s[8:9]
	s_or_b64 s[4:5], s[8:9], s[4:5]
	s_andn2_b64 vcc, exec, s[4:5]
	s_mov_b64 s[4:5], -1
	s_cbranch_vccz .LBB14_28
; %bb.23:
	s_add_i32 s8, s28, 1
	s_lshl_b64 s[4:5], s[16:17], 2
	s_add_u32 s4, s24, s4
	v_mov_b32_e32 v2, 0
	s_addc_u32 s5, s25, s5
	v_cvt_f64_i32_e32 v[0:1], s8
	v_mov_b32_e32 v3, v2
	s_cmp_lt_i32 s28, 0
	global_store_dwordx4 v2, v[0:3], s[12:13] offset:16
	global_store_dword v2, v2, s[4:5]
	s_cbranch_scc1 .LBB14_27
; %bb.24:
	s_mov_b64 s[4:5], 0
	v_mov_b32_e32 v1, 0
.LBB14_25:                              ; =>This Inner Loop Header: Depth=1
	v_mov_b32_e32 v0, s8
	global_atomic_cmpswap v1, v2, v[0:1], s[2:3] offset:4 glc
	s_waitcnt vmcnt(0)
	v_cmp_lt_i32_e32 vcc, s28, v1
	s_or_b64 s[4:5], vcc, s[4:5]
	s_andn2_b64 exec, exec, s[4:5]
	s_cbranch_execnz .LBB14_25
; %bb.26:
	s_or_b64 exec, exec, s[4:5]
.LBB14_27:
	s_mov_b64 s[4:5], 0
.LBB14_28:
	s_andn2_b64 vcc, exec, s[4:5]
	s_cbranch_vccnz .LBB14_34
; %bb.29:
	s_and_b64 vcc, exec, s[0:1]
	s_cbranch_vccnz .LBB14_32
; %bb.30:
	s_mov_b32 s0, 0
	s_mov_b32 s1, 0x7ff80000
	v_mov_b32_e32 v2, 0
	v_pk_mov_b32 v[0:1], s[0:1], s[0:1] op_sel:[0,1]
.LBB14_31:                              ; =>This Inner Loop Header: Depth=1
	s_add_i32 s7, s7, -1
	global_store_dwordx2 v2, v[0:1], s[18:19]
	global_store_dwordx2 v2, v[0:1], s[22:23]
	s_add_u32 s18, s18, 8
	s_addc_u32 s19, s19, 0
	s_add_u32 s22, s22, 8
	s_addc_u32 s23, s23, 0
	s_cmp_eq_u32 s7, 0
	s_cbranch_scc0 .LBB14_31
.LBB14_32:
	s_lshl_b64 s[4:5], s[16:17], 2
	s_add_u32 s8, s24, s4
	v_mov_b32_e32 v0, 0
	v_mov_b32_e32 v1, 0x7ff80000
	s_addc_u32 s9, s25, s5
	global_store_dwordx2 v0, v[0:1], s[20:21] offset:-8
	v_mov_b32_e32 v1, s6
	s_add_u32 s4, s2, s4
	s_mov_b64 s[0:1], exec
	global_store_dword v0, v1, s[8:9]
	s_addc_u32 s5, s3, s5
	v_mov_b32_e32 v1, 2
	global_store_dword v0, v1, s[4:5] offset:8
	v_mbcnt_lo_u32_b32 v1, s0, 0
	v_mbcnt_hi_u32_b32 v1, s1, v1
	v_cmp_eq_u32_e32 vcc, 0, v1
	s_and_saveexec_b64 s[4:5], vcc
	s_cbranch_execz .LBB14_34
; %bb.33:
	s_bcnt1_i32_b64 s0, s[0:1]
	v_mov_b32_e32 v1, s0
	global_atomic_add v0, v1, s[2:3]
.LBB14_34:
	s_endpgm
	.section	.rodata,"a",@progbits
	.p2align	6, 0x0
	.amdhsa_kernel _ZN9rocsolver6v33100L10bdsqr_initIddEEviPT0_lS3_lPiiS2_S2_S4_S3_lS4_
		.amdhsa_group_segment_fixed_size 0
		.amdhsa_private_segment_fixed_size 0
		.amdhsa_kernarg_size 104
		.amdhsa_user_sgpr_count 6
		.amdhsa_user_sgpr_private_segment_buffer 1
		.amdhsa_user_sgpr_dispatch_ptr 0
		.amdhsa_user_sgpr_queue_ptr 0
		.amdhsa_user_sgpr_kernarg_segment_ptr 1
		.amdhsa_user_sgpr_dispatch_id 0
		.amdhsa_user_sgpr_flat_scratch_init 0
		.amdhsa_user_sgpr_kernarg_preload_length 0
		.amdhsa_user_sgpr_kernarg_preload_offset 0
		.amdhsa_user_sgpr_private_segment_size 0
		.amdhsa_uses_dynamic_stack 0
		.amdhsa_system_sgpr_private_segment_wavefront_offset 0
		.amdhsa_system_sgpr_workgroup_id_x 1
		.amdhsa_system_sgpr_workgroup_id_y 1
		.amdhsa_system_sgpr_workgroup_id_z 0
		.amdhsa_system_sgpr_workgroup_info 0
		.amdhsa_system_vgpr_workitem_id 0
		.amdhsa_next_free_vgpr 16
		.amdhsa_next_free_sgpr 36
		.amdhsa_accum_offset 16
		.amdhsa_reserve_vcc 1
		.amdhsa_reserve_flat_scratch 0
		.amdhsa_float_round_mode_32 0
		.amdhsa_float_round_mode_16_64 0
		.amdhsa_float_denorm_mode_32 3
		.amdhsa_float_denorm_mode_16_64 3
		.amdhsa_dx10_clamp 1
		.amdhsa_ieee_mode 1
		.amdhsa_fp16_overflow 0
		.amdhsa_tg_split 0
		.amdhsa_exception_fp_ieee_invalid_op 0
		.amdhsa_exception_fp_denorm_src 0
		.amdhsa_exception_fp_ieee_div_zero 0
		.amdhsa_exception_fp_ieee_overflow 0
		.amdhsa_exception_fp_ieee_underflow 0
		.amdhsa_exception_fp_ieee_inexact 0
		.amdhsa_exception_int_div_zero 0
	.end_amdhsa_kernel
	.section	.text._ZN9rocsolver6v33100L10bdsqr_initIddEEviPT0_lS3_lPiiS2_S2_S4_S3_lS4_,"axG",@progbits,_ZN9rocsolver6v33100L10bdsqr_initIddEEviPT0_lS3_lPiiS2_S2_S4_S3_lS4_,comdat
.Lfunc_end14:
	.size	_ZN9rocsolver6v33100L10bdsqr_initIddEEviPT0_lS3_lPiiS2_S2_S4_S3_lS4_, .Lfunc_end14-_ZN9rocsolver6v33100L10bdsqr_initIddEEviPT0_lS3_lPiiS2_S2_S4_S3_lS4_
                                        ; -- End function
	.section	.AMDGPU.csdata,"",@progbits
; Kernel info:
; codeLenInByte = 1584
; NumSgprs: 40
; NumVgprs: 16
; NumAgprs: 0
; TotalNumVgprs: 16
; ScratchSize: 0
; MemoryBound: 0
; FloatMode: 240
; IeeeMode: 1
; LDSByteSize: 0 bytes/workgroup (compile time only)
; SGPRBlocks: 4
; VGPRBlocks: 1
; NumSGPRsForWavesPerEU: 40
; NumVGPRsForWavesPerEU: 16
; AccumOffset: 16
; Occupancy: 8
; WaveLimiterHint : 0
; COMPUTE_PGM_RSRC2:SCRATCH_EN: 0
; COMPUTE_PGM_RSRC2:USER_SGPR: 6
; COMPUTE_PGM_RSRC2:TRAP_HANDLER: 0
; COMPUTE_PGM_RSRC2:TGID_X_EN: 1
; COMPUTE_PGM_RSRC2:TGID_Y_EN: 1
; COMPUTE_PGM_RSRC2:TGID_Z_EN: 0
; COMPUTE_PGM_RSRC2:TIDIG_COMP_CNT: 0
; COMPUTE_PGM_RSRC3_GFX90A:ACCUM_OFFSET: 3
; COMPUTE_PGM_RSRC3_GFX90A:TG_SPLIT: 0
	.section	.text._ZN9rocsolver6v33100L11swap_kernelIdiEEvT0_PT_S2_S4_S2_,"axG",@progbits,_ZN9rocsolver6v33100L11swap_kernelIdiEEvT0_PT_S2_S4_S2_,comdat
	.globl	_ZN9rocsolver6v33100L11swap_kernelIdiEEvT0_PT_S2_S4_S2_ ; -- Begin function _ZN9rocsolver6v33100L11swap_kernelIdiEEvT0_PT_S2_S4_S2_
	.p2align	8
	.type	_ZN9rocsolver6v33100L11swap_kernelIdiEEvT0_PT_S2_S4_S2_,@function
_ZN9rocsolver6v33100L11swap_kernelIdiEEvT0_PT_S2_S4_S2_: ; @_ZN9rocsolver6v33100L11swap_kernelIdiEEvT0_PT_S2_S4_S2_
; %bb.0:
	s_load_dword s16, s[4:5], 0x0
	s_waitcnt lgkmcnt(0)
	s_cmp_lt_i32 s16, 1
	s_cbranch_scc1 .LBB15_10
; %bb.1:
	s_load_dword s0, s[4:5], 0x28
	s_load_dword s1, s[4:5], 0x34
	s_load_dwordx2 s[2:3], s[4:5], 0x8
	s_load_dword s12, s[4:5], 0x10
	s_load_dwordx2 s[8:9], s[4:5], 0x18
	s_load_dword s10, s[4:5], 0x20
	s_waitcnt lgkmcnt(0)
	s_and_b32 s1, s1, 0xffff
	s_mul_i32 s6, s6, s1
	s_cmp_eq_u32 s12, 1
	s_mul_i32 s4, s0, s1
	s_cselect_b64 s[0:1], -1, 0
	s_cmp_eq_u32 s10, 1
	v_add_u32_e32 v0, s6, v0
	s_cselect_b64 s[6:7], -1, 0
	s_and_b64 s[14:15], s[0:1], s[6:7]
	v_cmp_gt_i32_e64 s[0:1], s16, v0
	s_mov_b64 s[6:7], -1
	s_and_b64 vcc, exec, s[14:15]
	s_cbranch_vccnz .LBB15_6
; %bb.2:
	s_and_saveexec_b64 s[6:7], s[0:1]
	s_cbranch_execz .LBB15_5
; %bb.3:
	v_mad_i64_i32 v[2:3], s[14:15], s10, v0, 0
	v_lshlrev_b64 v[2:3], 3, v[2:3]
	v_mov_b32_e32 v1, s9
	v_add_co_u32_e32 v2, vcc, s8, v2
	v_mad_i64_i32 v[4:5], s[14:15], s12, v0, 0
	v_addc_co_u32_e32 v3, vcc, v1, v3, vcc
	s_mul_hi_i32 s11, s10, s4
	s_mul_i32 s10, s10, s4
	v_lshlrev_b64 v[4:5], 3, v[4:5]
	s_mul_hi_i32 s13, s12, s4
	s_mul_i32 s12, s12, s4
	s_lshl_b64 s[10:11], s[10:11], 3
	v_mov_b32_e32 v1, s3
	v_add_co_u32_e32 v4, vcc, s2, v4
	s_lshl_b64 s[12:13], s[12:13], 3
	v_addc_co_u32_e32 v5, vcc, v1, v5, vcc
	s_mov_b64 s[14:15], 0
	v_mov_b32_e32 v1, s11
	v_mov_b32_e32 v6, s13
	;; [unrolled: 1-line block ×3, first 2 shown]
.LBB15_4:                               ; =>This Inner Loop Header: Depth=1
	global_load_dwordx2 v[8:9], v[4:5], off
	global_load_dwordx2 v[10:11], v[2:3], off
	v_add_u32_e32 v7, s4, v7
	v_cmp_le_i32_e32 vcc, s16, v7
	s_or_b64 s[14:15], vcc, s[14:15]
	s_waitcnt vmcnt(1)
	global_store_dwordx2 v[2:3], v[8:9], off
	s_waitcnt vmcnt(1)
	global_store_dwordx2 v[4:5], v[10:11], off
	v_add_co_u32_e32 v2, vcc, s10, v2
	v_addc_co_u32_e32 v3, vcc, v3, v1, vcc
	v_add_co_u32_e32 v4, vcc, s12, v4
	v_addc_co_u32_e32 v5, vcc, v5, v6, vcc
	s_andn2_b64 exec, exec, s[14:15]
	s_cbranch_execnz .LBB15_4
.LBB15_5:
	s_or_b64 exec, exec, s[6:7]
	s_mov_b64 s[6:7], 0
.LBB15_6:
	s_andn2_b64 vcc, exec, s[6:7]
	s_cbranch_vccnz .LBB15_10
; %bb.7:
	s_and_saveexec_b64 s[6:7], s[0:1]
	s_cbranch_execz .LBB15_10
; %bb.8:
	s_ashr_i32 s5, s4, 31
	v_ashrrev_i32_e32 v1, 31, v0
	s_lshl_b64 s[0:1], s[4:5], 3
	v_lshlrev_b64 v[2:3], 3, v[0:1]
	s_mov_b64 s[6:7], 0
	v_mov_b32_e32 v1, s9
	v_mov_b32_e32 v4, s3
	;; [unrolled: 1-line block ×3, first 2 shown]
.LBB15_9:                               ; =>This Inner Loop Header: Depth=1
	v_add_co_u32_e32 v6, vcc, s8, v2
	v_addc_co_u32_e32 v7, vcc, v1, v3, vcc
	v_add_co_u32_e32 v8, vcc, s2, v2
	v_addc_co_u32_e32 v9, vcc, v4, v3, vcc
	global_load_dwordx2 v[10:11], v[8:9], off
	global_load_dwordx2 v[12:13], v[6:7], off
	v_add_co_u32_e32 v2, vcc, s0, v2
	v_add_u32_e32 v0, s4, v0
	v_addc_co_u32_e32 v3, vcc, v3, v5, vcc
	v_cmp_le_i32_e32 vcc, s16, v0
	s_or_b64 s[6:7], vcc, s[6:7]
	s_waitcnt vmcnt(1)
	global_store_dwordx2 v[6:7], v[10:11], off
	s_waitcnt vmcnt(1)
	global_store_dwordx2 v[8:9], v[12:13], off
	s_andn2_b64 exec, exec, s[6:7]
	s_cbranch_execnz .LBB15_9
.LBB15_10:
	s_endpgm
	.section	.rodata,"a",@progbits
	.p2align	6, 0x0
	.amdhsa_kernel _ZN9rocsolver6v33100L11swap_kernelIdiEEvT0_PT_S2_S4_S2_
		.amdhsa_group_segment_fixed_size 0
		.amdhsa_private_segment_fixed_size 0
		.amdhsa_kernarg_size 296
		.amdhsa_user_sgpr_count 6
		.amdhsa_user_sgpr_private_segment_buffer 1
		.amdhsa_user_sgpr_dispatch_ptr 0
		.amdhsa_user_sgpr_queue_ptr 0
		.amdhsa_user_sgpr_kernarg_segment_ptr 1
		.amdhsa_user_sgpr_dispatch_id 0
		.amdhsa_user_sgpr_flat_scratch_init 0
		.amdhsa_user_sgpr_kernarg_preload_length 0
		.amdhsa_user_sgpr_kernarg_preload_offset 0
		.amdhsa_user_sgpr_private_segment_size 0
		.amdhsa_uses_dynamic_stack 0
		.amdhsa_system_sgpr_private_segment_wavefront_offset 0
		.amdhsa_system_sgpr_workgroup_id_x 1
		.amdhsa_system_sgpr_workgroup_id_y 0
		.amdhsa_system_sgpr_workgroup_id_z 0
		.amdhsa_system_sgpr_workgroup_info 0
		.amdhsa_system_vgpr_workitem_id 0
		.amdhsa_next_free_vgpr 14
		.amdhsa_next_free_sgpr 17
		.amdhsa_accum_offset 16
		.amdhsa_reserve_vcc 1
		.amdhsa_reserve_flat_scratch 0
		.amdhsa_float_round_mode_32 0
		.amdhsa_float_round_mode_16_64 0
		.amdhsa_float_denorm_mode_32 3
		.amdhsa_float_denorm_mode_16_64 3
		.amdhsa_dx10_clamp 1
		.amdhsa_ieee_mode 1
		.amdhsa_fp16_overflow 0
		.amdhsa_tg_split 0
		.amdhsa_exception_fp_ieee_invalid_op 0
		.amdhsa_exception_fp_denorm_src 0
		.amdhsa_exception_fp_ieee_div_zero 0
		.amdhsa_exception_fp_ieee_overflow 0
		.amdhsa_exception_fp_ieee_underflow 0
		.amdhsa_exception_fp_ieee_inexact 0
		.amdhsa_exception_int_div_zero 0
	.end_amdhsa_kernel
	.section	.text._ZN9rocsolver6v33100L11swap_kernelIdiEEvT0_PT_S2_S4_S2_,"axG",@progbits,_ZN9rocsolver6v33100L11swap_kernelIdiEEvT0_PT_S2_S4_S2_,comdat
.Lfunc_end15:
	.size	_ZN9rocsolver6v33100L11swap_kernelIdiEEvT0_PT_S2_S4_S2_, .Lfunc_end15-_ZN9rocsolver6v33100L11swap_kernelIdiEEvT0_PT_S2_S4_S2_
                                        ; -- End function
	.section	.AMDGPU.csdata,"",@progbits
; Kernel info:
; codeLenInByte = 460
; NumSgprs: 21
; NumVgprs: 14
; NumAgprs: 0
; TotalNumVgprs: 14
; ScratchSize: 0
; MemoryBound: 0
; FloatMode: 240
; IeeeMode: 1
; LDSByteSize: 0 bytes/workgroup (compile time only)
; SGPRBlocks: 2
; VGPRBlocks: 1
; NumSGPRsForWavesPerEU: 21
; NumVGPRsForWavesPerEU: 14
; AccumOffset: 16
; Occupancy: 8
; WaveLimiterHint : 0
; COMPUTE_PGM_RSRC2:SCRATCH_EN: 0
; COMPUTE_PGM_RSRC2:USER_SGPR: 6
; COMPUTE_PGM_RSRC2:TRAP_HANDLER: 0
; COMPUTE_PGM_RSRC2:TGID_X_EN: 1
; COMPUTE_PGM_RSRC2:TGID_Y_EN: 0
; COMPUTE_PGM_RSRC2:TGID_Z_EN: 0
; COMPUTE_PGM_RSRC2:TIDIG_COMP_CNT: 0
; COMPUTE_PGM_RSRC3_GFX90A:ACCUM_OFFSET: 3
; COMPUTE_PGM_RSRC3_GFX90A:TG_SPLIT: 0
	.section	.text._ZN9rocsolver6v33100L10rot_kernelIddiEEvT1_PT0_S2_S4_S2_T_S5_,"axG",@progbits,_ZN9rocsolver6v33100L10rot_kernelIddiEEvT1_PT0_S2_S4_S2_T_S5_,comdat
	.globl	_ZN9rocsolver6v33100L10rot_kernelIddiEEvT1_PT0_S2_S4_S2_T_S5_ ; -- Begin function _ZN9rocsolver6v33100L10rot_kernelIddiEEvT1_PT0_S2_S4_S2_T_S5_
	.p2align	8
	.type	_ZN9rocsolver6v33100L10rot_kernelIddiEEvT1_PT0_S2_S4_S2_T_S5_,@function
_ZN9rocsolver6v33100L10rot_kernelIddiEEvT1_PT0_S2_S4_S2_T_S5_: ; @_ZN9rocsolver6v33100L10rot_kernelIddiEEvT1_PT0_S2_S4_S2_T_S5_
; %bb.0:
	s_load_dword s20, s[4:5], 0x0
	s_waitcnt lgkmcnt(0)
	s_cmp_lt_i32 s20, 1
	s_cbranch_scc1 .LBB16_10
; %bb.1:
	s_load_dwordx4 s[8:11], s[4:5], 0x28
	s_load_dword s0, s[4:5], 0x38
	s_load_dword s1, s[4:5], 0x44
	s_load_dwordx2 s[2:3], s[4:5], 0x8
	s_load_dword s16, s[4:5], 0x10
	s_load_dwordx2 s[12:13], s[4:5], 0x18
	s_load_dword s14, s[4:5], 0x20
	s_waitcnt lgkmcnt(0)
	s_and_b32 s1, s1, 0xffff
	s_mul_i32 s6, s6, s1
	s_cmp_eq_u32 s16, 1
	s_mul_i32 s4, s0, s1
	s_cselect_b64 s[0:1], -1, 0
	s_cmp_eq_u32 s14, 1
	v_add_u32_e32 v0, s6, v0
	s_cselect_b64 s[6:7], -1, 0
	s_and_b64 s[18:19], s[0:1], s[6:7]
	v_cmp_gt_i32_e64 s[0:1], s20, v0
	s_mov_b64 s[6:7], -1
	s_and_b64 vcc, exec, s[18:19]
	s_cbranch_vccnz .LBB16_6
; %bb.2:
	s_and_saveexec_b64 s[6:7], s[0:1]
	s_cbranch_execz .LBB16_5
; %bb.3:
	v_mad_i64_i32 v[2:3], s[18:19], s14, v0, 0
	v_lshlrev_b64 v[2:3], 3, v[2:3]
	v_mov_b32_e32 v1, s13
	v_add_co_u32_e32 v2, vcc, s12, v2
	v_mad_i64_i32 v[4:5], s[18:19], s16, v0, 0
	v_addc_co_u32_e32 v3, vcc, v1, v3, vcc
	s_mul_hi_i32 s15, s14, s4
	s_mul_i32 s14, s14, s4
	v_lshlrev_b64 v[4:5], 3, v[4:5]
	s_mul_hi_i32 s17, s16, s4
	s_mul_i32 s16, s16, s4
	s_lshl_b64 s[14:15], s[14:15], 3
	v_mov_b32_e32 v1, s3
	v_add_co_u32_e32 v4, vcc, s2, v4
	s_lshl_b64 s[16:17], s[16:17], 3
	v_addc_co_u32_e32 v5, vcc, v1, v5, vcc
	s_mov_b64 s[18:19], 0
	v_mov_b32_e32 v1, s15
	v_mov_b32_e32 v6, s17
	;; [unrolled: 1-line block ×3, first 2 shown]
.LBB16_4:                               ; =>This Inner Loop Header: Depth=1
	global_load_dwordx2 v[8:9], v[2:3], off
	global_load_dwordx2 v[10:11], v[4:5], off
	v_add_u32_e32 v7, s4, v7
	v_cmp_le_i32_e32 vcc, s20, v7
	s_or_b64 s[18:19], vcc, s[18:19]
	s_waitcnt vmcnt(1)
	v_mul_f64 v[12:13], v[8:9], s[10:11]
	s_waitcnt vmcnt(0)
	v_mul_f64 v[14:15], v[10:11], s[10:11]
	v_fma_f64 v[8:9], v[8:9], s[8:9], -v[14:15]
	v_fmac_f64_e32 v[12:13], s[8:9], v[10:11]
	global_store_dwordx2 v[2:3], v[8:9], off
	global_store_dwordx2 v[4:5], v[12:13], off
	v_add_co_u32_e32 v2, vcc, s14, v2
	v_addc_co_u32_e32 v3, vcc, v3, v1, vcc
	v_add_co_u32_e32 v4, vcc, s16, v4
	v_addc_co_u32_e32 v5, vcc, v5, v6, vcc
	s_andn2_b64 exec, exec, s[18:19]
	s_cbranch_execnz .LBB16_4
.LBB16_5:
	s_or_b64 exec, exec, s[6:7]
	s_mov_b64 s[6:7], 0
.LBB16_6:
	s_andn2_b64 vcc, exec, s[6:7]
	s_cbranch_vccnz .LBB16_10
; %bb.7:
	s_and_saveexec_b64 s[6:7], s[0:1]
	s_cbranch_execz .LBB16_10
; %bb.8:
	s_ashr_i32 s5, s4, 31
	v_ashrrev_i32_e32 v1, 31, v0
	s_lshl_b64 s[0:1], s[4:5], 3
	v_lshlrev_b64 v[2:3], 3, v[0:1]
	s_mov_b64 s[6:7], 0
	v_mov_b32_e32 v1, s3
	v_mov_b32_e32 v4, s13
	;; [unrolled: 1-line block ×3, first 2 shown]
.LBB16_9:                               ; =>This Inner Loop Header: Depth=1
	v_add_co_u32_e32 v6, vcc, s2, v2
	v_addc_co_u32_e32 v7, vcc, v1, v3, vcc
	v_add_co_u32_e32 v8, vcc, s12, v2
	v_addc_co_u32_e32 v9, vcc, v4, v3, vcc
	global_load_dwordx2 v[10:11], v[8:9], off
	global_load_dwordx2 v[12:13], v[6:7], off
	v_add_co_u32_e32 v2, vcc, s0, v2
	v_add_u32_e32 v0, s4, v0
	v_addc_co_u32_e32 v3, vcc, v3, v5, vcc
	v_cmp_le_i32_e32 vcc, s20, v0
	s_or_b64 s[6:7], vcc, s[6:7]
	s_waitcnt vmcnt(1)
	v_mul_f64 v[14:15], v[10:11], s[10:11]
	s_waitcnt vmcnt(0)
	v_mul_f64 v[16:17], v[12:13], s[10:11]
	v_fma_f64 v[10:11], v[10:11], s[8:9], -v[16:17]
	v_fmac_f64_e32 v[14:15], s[8:9], v[12:13]
	global_store_dwordx2 v[8:9], v[10:11], off
	global_store_dwordx2 v[6:7], v[14:15], off
	s_andn2_b64 exec, exec, s[6:7]
	s_cbranch_execnz .LBB16_9
.LBB16_10:
	s_endpgm
	.section	.rodata,"a",@progbits
	.p2align	6, 0x0
	.amdhsa_kernel _ZN9rocsolver6v33100L10rot_kernelIddiEEvT1_PT0_S2_S4_S2_T_S5_
		.amdhsa_group_segment_fixed_size 0
		.amdhsa_private_segment_fixed_size 0
		.amdhsa_kernarg_size 312
		.amdhsa_user_sgpr_count 6
		.amdhsa_user_sgpr_private_segment_buffer 1
		.amdhsa_user_sgpr_dispatch_ptr 0
		.amdhsa_user_sgpr_queue_ptr 0
		.amdhsa_user_sgpr_kernarg_segment_ptr 1
		.amdhsa_user_sgpr_dispatch_id 0
		.amdhsa_user_sgpr_flat_scratch_init 0
		.amdhsa_user_sgpr_kernarg_preload_length 0
		.amdhsa_user_sgpr_kernarg_preload_offset 0
		.amdhsa_user_sgpr_private_segment_size 0
		.amdhsa_uses_dynamic_stack 0
		.amdhsa_system_sgpr_private_segment_wavefront_offset 0
		.amdhsa_system_sgpr_workgroup_id_x 1
		.amdhsa_system_sgpr_workgroup_id_y 0
		.amdhsa_system_sgpr_workgroup_id_z 0
		.amdhsa_system_sgpr_workgroup_info 0
		.amdhsa_system_vgpr_workitem_id 0
		.amdhsa_next_free_vgpr 18
		.amdhsa_next_free_sgpr 21
		.amdhsa_accum_offset 20
		.amdhsa_reserve_vcc 1
		.amdhsa_reserve_flat_scratch 0
		.amdhsa_float_round_mode_32 0
		.amdhsa_float_round_mode_16_64 0
		.amdhsa_float_denorm_mode_32 3
		.amdhsa_float_denorm_mode_16_64 3
		.amdhsa_dx10_clamp 1
		.amdhsa_ieee_mode 1
		.amdhsa_fp16_overflow 0
		.amdhsa_tg_split 0
		.amdhsa_exception_fp_ieee_invalid_op 0
		.amdhsa_exception_fp_denorm_src 0
		.amdhsa_exception_fp_ieee_div_zero 0
		.amdhsa_exception_fp_ieee_overflow 0
		.amdhsa_exception_fp_ieee_underflow 0
		.amdhsa_exception_fp_ieee_inexact 0
		.amdhsa_exception_int_div_zero 0
	.end_amdhsa_kernel
	.section	.text._ZN9rocsolver6v33100L10rot_kernelIddiEEvT1_PT0_S2_S4_S2_T_S5_,"axG",@progbits,_ZN9rocsolver6v33100L10rot_kernelIddiEEvT1_PT0_S2_S4_S2_T_S5_,comdat
.Lfunc_end16:
	.size	_ZN9rocsolver6v33100L10rot_kernelIddiEEvT1_PT0_S2_S4_S2_T_S5_, .Lfunc_end16-_ZN9rocsolver6v33100L10rot_kernelIddiEEvT1_PT0_S2_S4_S2_T_S5_
                                        ; -- End function
	.section	.AMDGPU.csdata,"",@progbits
; Kernel info:
; codeLenInByte = 524
; NumSgprs: 25
; NumVgprs: 18
; NumAgprs: 0
; TotalNumVgprs: 18
; ScratchSize: 0
; MemoryBound: 0
; FloatMode: 240
; IeeeMode: 1
; LDSByteSize: 0 bytes/workgroup (compile time only)
; SGPRBlocks: 3
; VGPRBlocks: 2
; NumSGPRsForWavesPerEU: 25
; NumVGPRsForWavesPerEU: 18
; AccumOffset: 20
; Occupancy: 8
; WaveLimiterHint : 0
; COMPUTE_PGM_RSRC2:SCRATCH_EN: 0
; COMPUTE_PGM_RSRC2:USER_SGPR: 6
; COMPUTE_PGM_RSRC2:TRAP_HANDLER: 0
; COMPUTE_PGM_RSRC2:TGID_X_EN: 1
; COMPUTE_PGM_RSRC2:TGID_Y_EN: 0
; COMPUTE_PGM_RSRC2:TGID_Z_EN: 0
; COMPUTE_PGM_RSRC2:TIDIG_COMP_CNT: 0
; COMPUTE_PGM_RSRC3_GFX90A:ACCUM_OFFSET: 4
; COMPUTE_PGM_RSRC3_GFX90A:TG_SPLIT: 0
	.section	.text._ZN9rocsolver6v33100L11lasr_kernelIddPdiEEv13rocblas_side_14rocblas_pivot_15rocblas_direct_T2_S6_PT0_lS8_lT1_lS6_lS6_,"axG",@progbits,_ZN9rocsolver6v33100L11lasr_kernelIddPdiEEv13rocblas_side_14rocblas_pivot_15rocblas_direct_T2_S6_PT0_lS8_lT1_lS6_lS6_,comdat
	.globl	_ZN9rocsolver6v33100L11lasr_kernelIddPdiEEv13rocblas_side_14rocblas_pivot_15rocblas_direct_T2_S6_PT0_lS8_lT1_lS6_lS6_ ; -- Begin function _ZN9rocsolver6v33100L11lasr_kernelIddPdiEEv13rocblas_side_14rocblas_pivot_15rocblas_direct_T2_S6_PT0_lS8_lT1_lS6_lS6_
	.p2align	8
	.type	_ZN9rocsolver6v33100L11lasr_kernelIddPdiEEv13rocblas_side_14rocblas_pivot_15rocblas_direct_T2_S6_PT0_lS8_lT1_lS6_lS6_,@function
_ZN9rocsolver6v33100L11lasr_kernelIddPdiEEv13rocblas_side_14rocblas_pivot_15rocblas_direct_T2_S6_PT0_lS8_lT1_lS6_lS6_: ; @_ZN9rocsolver6v33100L11lasr_kernelIddPdiEEv13rocblas_side_14rocblas_pivot_15rocblas_direct_T2_S6_PT0_lS8_lT1_lS6_lS6_
; %bb.0:
	s_load_dword s33, s[4:5], 0x58
	s_waitcnt lgkmcnt(0)
	s_cmp_ge_u32 s7, s33
	s_cbranch_scc1 .LBB17_98
; %bb.1:
	s_load_dwordx4 s[0:3], s[4:5], 0x38
	s_load_dword s20, s[4:5], 0x48
	s_load_dwordx2 s[22:23], s[4:5], 0x50
	s_load_dword s26, s[4:5], 0x60
	s_load_dwordx2 s[24:25], s[4:5], 0x68
	s_load_dwordx4 s[16:19], s[4:5], 0x0
	s_load_dword s86, s[4:5], 0x10
	s_load_dwordx8 s[8:15], s[4:5], 0x18
	s_waitcnt lgkmcnt(0)
	s_ashr_i32 s21, s20, 31
	s_and_b32 s5, s25, 0xffff
	s_mul_i32 s6, s6, s5
	s_lshl_b64 s[2:3], s[2:3], 3
	v_add_u32_e32 v0, s6, v0
	s_add_u32 s6, s0, s2
	s_addc_u32 s25, s1, s3
	s_cmpk_lg_i32 s16, 0x8d
	s_cselect_b64 s[38:39], -1, 0
	s_cmpk_lg_i32 s16, 0x8e
	s_cselect_b64 s[44:45], -1, 0
	;; [unrolled: 2-line block ×6, first 2 shown]
	s_or_b64 s[28:29], s[38:39], s[42:43]
	s_or_b64 s[16:17], s[28:29], s[52:53]
	s_xor_b64 s[16:17], s[16:17], -1
	s_ashr_i32 s27, s19, 31
	s_add_i32 s62, s19, -2
	s_cmpk_lg_i32 s18, 0xac
	s_cselect_b64 s[54:55], -1, 0
	s_or_b64 s[28:29], s[28:29], s[54:55]
	s_xor_b64 s[28:29], s[28:29], -1
	s_cmp_gt_i32 s19, 1
	s_cselect_b64 s[30:31], -1, 0
	s_or_b64 s[36:37], s[38:39], s[50:51]
	s_or_b64 s[40:41], s[38:39], s[48:49]
	;; [unrolled: 1-line block ×9, first 2 shown]
	s_xor_b64 s[34:35], s[34:35], -1
	s_xor_b64 s[36:37], s[36:37], -1
	s_xor_b64 s[38:39], s[38:39], -1
	s_xor_b64 s[40:41], s[40:41], -1
	s_xor_b64 s[42:43], s[42:43], -1
	s_add_i32 s18, s86, -1
	s_xor_b64 s[46:47], s[46:47], -1
                                        ; implicit-def: $vgpr37 : SGPR spill to VGPR lane
	s_add_i32 s68, s86, -2
	v_writelane_b32 v37, s46, 0
	s_cmp_gt_i32 s86, 1
	v_writelane_b32 v37, s47, 1
	s_cselect_b64 s[46:47], -1, 0
	s_or_b64 s[50:51], s[44:45], s[50:51]
	s_or_b64 s[56:57], s[50:51], s[52:53]
	s_xor_b64 s[56:57], s[56:57], -1
	v_writelane_b32 v37, s56, 2
	s_or_b64 s[50:51], s[50:51], s[54:55]
	v_writelane_b32 v37, s57, 3
	s_xor_b64 s[50:51], s[50:51], -1
	s_or_b64 s[44:45], s[44:45], s[48:49]
	v_writelane_b32 v37, s50, 4
	s_or_b64 s[48:49], s[44:45], s[52:53]
	v_writelane_b32 v37, s51, 5
	s_xor_b64 s[48:49], s[48:49], -1
	v_writelane_b32 v37, s48, 6
	v_cmp_le_i32_e32 vcc, s19, v0
	v_writelane_b32 v37, s49, 7
	s_or_b64 s[48:49], s[54:55], vcc
	s_or_b64 s[44:45], s[44:45], s[48:49]
	s_xor_b64 s[44:45], s[44:45], -1
	v_writelane_b32 v37, s44, 8
	s_mul_i32 s4, s26, s5
	v_writelane_b32 v37, s45, 9
	v_mad_i64_i32 v[2:3], s[44:45], s20, v0, 0
	s_mul_hi_i32 s45, s20, s4
	s_mul_i32 s44, s20, s4
	s_mov_b32 s63, 0
	s_add_i32 s56, s19, -1
	s_lshl_b64 s[58:59], s[22:23], 3
	s_ashr_i32 s5, s4, 31
	s_lshl_b64 s[60:61], s[44:45], 3
	s_lshl_b64 s[10:11], s[10:11], 3
	s_lshl_b64 s[14:15], s[14:15], 3
	s_lshl_b64 s[44:45], s[62:63], 3
	s_add_u32 s87, s8, s44
	s_addc_u32 s88, s9, s45
	s_add_u32 s89, s12, s44
	s_addc_u32 s90, s13, s45
	s_mov_b32 s57, s63
	s_add_u32 s26, s0, s44
	s_addc_u32 s48, s1, s45
	s_add_i32 s91, s19, 1
	s_lshl_b64 s[44:45], s[56:57], 3
	s_add_u32 s49, s0, s44
	v_lshlrev_b64 v[2:3], 3, v[2:3]
	s_addc_u32 s50, s1, s45
	s_mul_i32 s44, s21, s18
	s_mul_hi_u32 s45, s20, s18
	s_mul_i32 s62, s20, s18
	v_mov_b32_e32 v1, s3
	v_add_co_u32_e32 v4, vcc, s2, v2
	s_add_i32 s45, s45, s44
	s_mov_b32 s44, s62
	v_addc_co_u32_e32 v1, vcc, v3, v1, vcc
	s_lshl_b64 s[44:45], s[44:45], 3
	s_lshl_b64 s[64:65], s[20:21], 3
	;; [unrolled: 1-line block ×3, first 2 shown]
	s_add_u32 s5, s44, s2
	v_mov_b32_e32 v2, s1
	v_add_co_u32_e32 v20, vcc, s0, v4
	s_addc_u32 s44, s45, s3
	v_addc_co_u32_e32 v21, vcc, v2, v1, vcc
	s_mov_b32 s69, s63
	s_add_u32 s51, s0, s5
	v_add_co_u32_e32 v2, vcc, 8, v20
	s_addc_u32 s52, s1, s44
	s_lshl_b64 s[44:45], s[68:69], 3
	v_addc_co_u32_e32 v3, vcc, 0, v21, vcc
	s_add_u32 s5, s8, s44
	v_mov_b32_e32 v5, s48
	v_add_co_u32_e32 v22, vcc, s26, v4
	s_addc_u32 s57, s9, s45
	v_addc_co_u32_e32 v23, vcc, v5, v1, vcc
	s_add_u32 s92, s12, s44
	s_mul_i32 s21, s21, s68
	s_mul_hi_u32 s44, s20, s68
	v_add_co_u32_e32 v24, vcc, 8, v22
	s_addc_u32 s93, s13, s45
	s_add_i32 s45, s44, s21
	s_mul_i32 s44, s20, s68
	v_addc_co_u32_e32 v25, vcc, 0, v23, vcc
	s_lshl_b64 s[44:45], s[44:45], 3
	v_mov_b32_e32 v5, s50
	v_add_co_u32_e32 v26, vcc, s49, v4
	s_add_u32 s21, s44, s2
	v_addc_co_u32_e32 v27, vcc, v5, v1, vcc
	v_ashrrev_i32_e32 v1, 31, v0
	s_addc_u32 s44, s45, s3
	v_lshlrev_b64 v[4:5], 3, v[0:1]
	s_add_u32 s21, s0, s21
	v_mov_b32_e32 v6, s25
	v_add_co_u32_e32 v1, vcc, s6, v4
	s_addc_u32 s44, s1, s44
	v_addc_co_u32_e32 v28, vcc, v6, v5, vcc
	s_add_u32 s2, s2, s64
	v_mov_b32_e32 v6, s52
	v_add_co_u32_e32 v29, vcc, s51, v4
	s_addc_u32 s3, s3, s65
	v_addc_co_u32_e32 v30, vcc, v6, v5, vcc
	s_add_u32 s2, s0, s2
	v_mov_b32_e32 v6, s44
	v_add_co_u32_e32 v31, vcc, s21, v4
	s_addc_u32 s1, s1, s3
	v_addc_co_u32_e32 v32, vcc, v6, v5, vcc
	s_add_i32 s21, s86, 1
	v_mov_b32_e32 v6, s1
	v_add_co_u32_e32 v33, vcc, s2, v4
	s_sub_u32 s94, 0, s64
	v_addc_co_u32_e32 v34, vcc, v6, v5, vcc
	s_mov_b32 s26, s19
	s_mul_hi_i32 s63, s20, s18
	v_mov_b32_e32 v35, 0
	v_mov_b32_e32 v36, s61
	s_subb_u32 s95, 0, s65
	v_cmp_gt_i32_e64 s[0:1], s86, v0
	v_cmp_gt_i32_e64 s[2:3], s19, v0
	s_branch .LBB17_4
.LBB17_2:                               ;   in Loop: Header=BB17_4 Depth=1
	s_or_b64 exec, exec, s[68:69]
.LBB17_3:                               ;   in Loop: Header=BB17_4 Depth=1
	s_add_i32 s7, s7, s24
	s_cmp_ge_u32 s7, s33
	s_cbranch_scc1 .LBB17_98
.LBB17_4:                               ; =>This Loop Header: Depth=1
                                        ;     Child Loop BB17_8 Depth 2
                                        ;       Child Loop BB17_9 Depth 3
                                        ;     Child Loop BB17_16 Depth 2
                                        ;       Child Loop BB17_17 Depth 3
	;; [unrolled: 2-line block ×12, first 2 shown]
	s_mul_i32 s44, s11, s7
	s_mul_hi_u32 s45, s10, s7
	s_add_i32 s84, s45, s44
	s_mul_i32 s44, s15, s7
	s_mul_hi_u32 s45, s14, s7
	s_mul_i32 s85, s10, s7
	s_add_i32 s50, s45, s44
	s_add_u32 s68, s8, s85
	v_mov_b32_e32 v4, s7
	s_mul_i32 s51, s14, s7
	s_addc_u32 s69, s9, s84
	v_mad_u64_u32 v[4:5], s[44:45], s58, v4, v[2:3]
	s_add_u32 s70, s12, s51
	s_mul_i32 s44, s7, s23
	s_mul_hi_u32 s45, s7, s22
	s_addc_u32 s71, s13, s50
	s_add_i32 s45, s45, s44
	s_mul_i32 s44, s7, s22
	s_lshl_b64 s[44:45], s[44:45], 3
	s_mul_i32 s52, s59, s7
	s_add_u32 s54, s6, s44
	v_add_u32_e32 v5, s52, v5
	s_addc_u32 s55, s25, s45
	s_andn2_b64 vcc, exec, s[16:17]
	s_mov_b64 s[72:73], -1
	s_cbranch_vccnz .LBB17_11
; %bb.5:                                ;   in Loop: Header=BB17_4 Depth=1
	s_and_saveexec_b64 s[72:73], s[0:1]
	s_cbranch_execz .LBB17_10
; %bb.6:                                ;   in Loop: Header=BB17_4 Depth=1
	s_lshl_b64 s[44:45], s[26:27], 3
	s_add_u32 s44, s54, s44
	s_addc_u32 s45, s55, s45
	s_add_u32 s48, s44, -8
	s_addc_u32 s44, s45, -1
	s_mov_b64 s[74:75], 0
	v_mov_b32_e32 v14, s55
	v_mov_b32_e32 v15, s44
	v_pk_mov_b32 v[6:7], v[4:5], v[4:5] op_sel:[0,1]
	v_mov_b32_e32 v16, v0
	s_branch .LBB17_8
.LBB17_7:                               ;   in Loop: Header=BB17_8 Depth=2
	v_add_co_u32_e32 v8, vcc, s48, v8
	v_addc_co_u32_e32 v9, vcc, v15, v9, vcc
	v_add_u32_e32 v16, s4, v16
	v_cmp_le_i32_e32 vcc, s86, v16
	s_or_b64 s[74:75], vcc, s[74:75]
	v_add_co_u32_e32 v6, vcc, s60, v6
	v_addc_co_u32_e32 v7, vcc, v7, v36, vcc
	s_waitcnt vmcnt(0)
	global_store_dwordx2 v[8:9], v[10:11], off
	s_andn2_b64 exec, exec, s[74:75]
	s_cbranch_execz .LBB17_10
.LBB17_8:                               ;   Parent Loop BB17_4 Depth=1
                                        ; =>  This Loop Header: Depth=2
                                        ;       Child Loop BB17_9 Depth 3
	v_mad_i64_i32 v[8:9], s[44:45], v16, s20, 0
	v_lshlrev_b64 v[8:9], 3, v[8:9]
	v_add_co_u32_e32 v10, vcc, s54, v8
	v_addc_co_u32_e32 v11, vcc, v14, v9, vcc
	global_load_dwordx2 v[10:11], v[10:11], off
	s_andn2_b64 vcc, exec, s[30:31]
	s_mov_b64 s[76:77], s[70:71]
	s_mov_b64 s[78:79], s[68:69]
	v_pk_mov_b32 v[12:13], v[6:7], v[6:7] op_sel:[0,1]
	s_mov_b32 s44, s56
	s_cbranch_vccnz .LBB17_7
.LBB17_9:                               ;   Parent Loop BB17_4 Depth=1
                                        ;     Parent Loop BB17_8 Depth=2
                                        ; =>    This Inner Loop Header: Depth=3
	global_load_dwordx2 v[18:19], v35, s[76:77]
	global_load_dwordx2 v[38:39], v[12:13], off
	global_load_dwordx2 v[40:41], v35, s[78:79]
	s_add_i32 s44, s44, -1
	s_add_u32 s78, s78, 8
	s_addc_u32 s79, s79, 0
	s_add_u32 s76, s76, 8
	s_addc_u32 s77, s77, 0
	s_cmp_eq_u32 s44, 0
	s_waitcnt vmcnt(1)
	v_mul_f64 v[42:43], v[18:19], v[38:39]
	s_waitcnt vmcnt(0)
	v_fmac_f64_e32 v[42:43], v[10:11], v[40:41]
	v_mul_f64 v[18:19], v[10:11], v[18:19]
	global_store_dwordx2 v[12:13], v[42:43], off offset:-8
	v_add_co_u32_e32 v12, vcc, 8, v12
	v_fma_f64 v[10:11], v[40:41], v[38:39], -v[18:19]
	v_addc_co_u32_e32 v13, vcc, 0, v13, vcc
	s_cbranch_scc0 .LBB17_9
	s_branch .LBB17_7
.LBB17_10:                              ;   in Loop: Header=BB17_4 Depth=1
	s_or_b64 exec, exec, s[72:73]
	s_mov_b64 s[72:73], 0
.LBB17_11:                              ;   in Loop: Header=BB17_4 Depth=1
	s_andn2_b64 vcc, exec, s[72:73]
	s_cbranch_vccnz .LBB17_3
; %bb.12:                               ;   in Loop: Header=BB17_4 Depth=1
	s_mul_hi_u32 s44, s58, s7
	s_add_i32 s52, s44, s52
	s_add_u32 s72, s87, s85
	s_addc_u32 s73, s88, s84
	s_add_u32 s74, s89, s51
	s_mul_i32 s53, s58, s7
	s_addc_u32 s75, s90, s50
	s_andn2_b64 vcc, exec, s[28:29]
	s_mov_b64 s[76:77], -1
	s_cbranch_vccnz .LBB17_19
; %bb.13:                               ;   in Loop: Header=BB17_4 Depth=1
	s_and_saveexec_b64 s[76:77], s[0:1]
	s_cbranch_execz .LBB17_18
; %bb.14:                               ;   in Loop: Header=BB17_4 Depth=1
	s_lshl_b64 s[44:45], s[26:27], 3
	s_add_u32 s44, s54, s44
	s_addc_u32 s45, s55, s45
	v_mov_b32_e32 v7, s52
	v_add_co_u32_e32 v6, vcc, s53, v24
	s_add_u32 s48, s44, -8
	v_addc_co_u32_e32 v7, vcc, v25, v7, vcc
	s_addc_u32 s49, s45, -1
	s_mov_b64 s[78:79], 0
	v_mov_b32_e32 v14, v0
	s_branch .LBB17_16
.LBB17_15:                              ;   in Loop: Header=BB17_16 Depth=2
	v_mov_b32_e32 v10, s55
	v_add_co_u32_e32 v8, vcc, s54, v8
	v_addc_co_u32_e32 v9, vcc, v10, v9, vcc
	v_add_u32_e32 v14, s4, v14
	v_cmp_le_i32_e32 vcc, s86, v14
	s_waitcnt vmcnt(0)
	global_store_dwordx2 v[8:9], v[12:13], off
	v_mov_b32_e32 v8, s61
	s_or_b64 s[78:79], vcc, s[78:79]
	v_add_co_u32_e32 v6, vcc, s60, v6
	v_addc_co_u32_e32 v7, vcc, v7, v8, vcc
	s_andn2_b64 exec, exec, s[78:79]
	s_cbranch_execz .LBB17_18
.LBB17_16:                              ;   Parent Loop BB17_4 Depth=1
                                        ; =>  This Loop Header: Depth=2
                                        ;       Child Loop BB17_17 Depth 3
	v_mad_i64_i32 v[8:9], s[44:45], v14, s20, 0
	v_lshlrev_b64 v[8:9], 3, v[8:9]
	v_mov_b32_e32 v11, s49
	v_add_co_u32_e32 v10, vcc, s48, v8
	v_addc_co_u32_e32 v11, vcc, v11, v9, vcc
	global_load_dwordx2 v[12:13], v[10:11], off
	s_andn2_b64 vcc, exec, s[30:31]
	v_pk_mov_b32 v[10:11], v[6:7], v[6:7] op_sel:[0,1]
	s_mov_b64 s[80:81], s[74:75]
	s_mov_b64 s[82:83], s[72:73]
	s_mov_b32 s44, s56
	s_cbranch_vccnz .LBB17_15
.LBB17_17:                              ;   Parent Loop BB17_4 Depth=1
                                        ;     Parent Loop BB17_16 Depth=2
                                        ; =>    This Inner Loop Header: Depth=3
	global_load_dwordx2 v[16:17], v[10:11], off offset:-8
	global_load_dwordx2 v[18:19], v35, s[80:81]
	global_load_dwordx2 v[38:39], v35, s[82:83]
	s_add_i32 s44, s44, -1
	s_add_u32 s82, s82, -8
	s_addc_u32 s83, s83, -1
	s_waitcnt vmcnt(3)
	v_pk_mov_b32 v[40:41], v[12:13], v[12:13] op_sel:[0,1]
	v_add_co_u32_e32 v42, vcc, -8, v10
	s_add_u32 s80, s80, -8
	v_addc_co_u32_e32 v43, vcc, -1, v11, vcc
	s_addc_u32 s81, s81, -1
	s_cmp_eq_u32 s44, 0
	s_waitcnt vmcnt(1)
	v_mul_f64 v[44:45], v[18:19], v[16:17]
	s_waitcnt vmcnt(0)
	v_mul_f64 v[12:13], v[38:39], v[16:17]
	v_fma_f64 v[16:17], v[40:41], v[38:39], -v[44:45]
	v_fmac_f64_e32 v[12:13], v[40:41], v[18:19]
	global_store_dwordx2 v[10:11], v[16:17], off
	v_pk_mov_b32 v[10:11], v[42:43], v[42:43] op_sel:[0,1]
	s_cbranch_scc0 .LBB17_17
	s_branch .LBB17_15
.LBB17_18:                              ;   in Loop: Header=BB17_4 Depth=1
	s_or_b64 exec, exec, s[76:77]
	s_mov_b64 s[76:77], 0
.LBB17_19:                              ;   in Loop: Header=BB17_4 Depth=1
	s_andn2_b64 vcc, exec, s[76:77]
	s_cbranch_vccnz .LBB17_3
; %bb.20:                               ;   in Loop: Header=BB17_4 Depth=1
	s_andn2_b64 vcc, exec, s[34:35]
	s_mov_b64 s[76:77], -1
	s_cbranch_vccnz .LBB17_27
; %bb.21:                               ;   in Loop: Header=BB17_4 Depth=1
	s_and_saveexec_b64 s[76:77], s[0:1]
	s_cbranch_execz .LBB17_26
; %bb.22:                               ;   in Loop: Header=BB17_4 Depth=1
	s_mov_b64 s[78:79], 0
	v_mov_b32_e32 v12, v0
	s_branch .LBB17_24
.LBB17_23:                              ;   in Loop: Header=BB17_24 Depth=2
	v_add_u32_e32 v12, s4, v12
	v_cmp_le_i32_e32 vcc, s86, v12
	s_waitcnt vmcnt(0)
	global_store_dwordx2 v[6:7], v[10:11], off
	v_mov_b32_e32 v6, s61
	s_or_b64 s[78:79], vcc, s[78:79]
	v_add_co_u32_e32 v4, vcc, s60, v4
	v_addc_co_u32_e32 v5, vcc, v5, v6, vcc
	s_andn2_b64 exec, exec, s[78:79]
	s_cbranch_execz .LBB17_26
.LBB17_24:                              ;   Parent Loop BB17_4 Depth=1
                                        ; =>  This Loop Header: Depth=2
                                        ;       Child Loop BB17_25 Depth 3
	v_mad_i64_i32 v[6:7], s[44:45], v12, s20, 0
	v_lshlrev_b64 v[6:7], 3, v[6:7]
	v_mov_b32_e32 v8, s55
	v_add_co_u32_e32 v6, vcc, s54, v6
	v_addc_co_u32_e32 v7, vcc, v8, v7, vcc
	global_load_dwordx2 v[10:11], v[6:7], off
	s_andn2_b64 vcc, exec, s[30:31]
	v_pk_mov_b32 v[8:9], v[4:5], v[4:5] op_sel:[0,1]
	s_mov_b32 s44, s56
	s_mov_b64 s[80:81], s[68:69]
	s_mov_b64 s[82:83], s[70:71]
	s_cbranch_vccnz .LBB17_23
.LBB17_25:                              ;   Parent Loop BB17_4 Depth=1
                                        ;     Parent Loop BB17_24 Depth=2
                                        ; =>    This Inner Loop Header: Depth=3
	global_load_dwordx2 v[14:15], v35, s[82:83]
	global_load_dwordx2 v[16:17], v[8:9], off
	global_load_dwordx2 v[18:19], v35, s[80:81]
	s_waitcnt vmcnt(3)
	v_pk_mov_b32 v[38:39], v[10:11], v[10:11] op_sel:[0,1]
	s_add_u32 s82, s82, 8
	s_addc_u32 s83, s83, 0
	s_add_u32 s80, s80, 8
	s_addc_u32 s81, s81, 0
	s_add_i32 s44, s44, -1
	s_cmp_eq_u32 s44, 0
	s_waitcnt vmcnt(2)
	v_mul_f64 v[40:41], v[38:39], v[14:15]
	s_waitcnt vmcnt(1)
	v_mul_f64 v[10:11], v[14:15], v[16:17]
	s_waitcnt vmcnt(0)
	v_fma_f64 v[14:15], v[18:19], v[16:17], -v[40:41]
	global_store_dwordx2 v[8:9], v[14:15], off
	v_add_co_u32_e32 v8, vcc, 8, v8
	v_fmac_f64_e32 v[10:11], v[38:39], v[18:19]
	v_addc_co_u32_e32 v9, vcc, 0, v9, vcc
	s_cbranch_scc0 .LBB17_25
	s_branch .LBB17_23
.LBB17_26:                              ;   in Loop: Header=BB17_4 Depth=1
	s_or_b64 exec, exec, s[76:77]
	s_mov_b64 s[76:77], 0
.LBB17_27:                              ;   in Loop: Header=BB17_4 Depth=1
	s_andn2_b64 vcc, exec, s[76:77]
	s_cbranch_vccnz .LBB17_3
; %bb.28:                               ;   in Loop: Header=BB17_4 Depth=1
	s_andn2_b64 vcc, exec, s[36:37]
	s_mov_b64 s[76:77], -1
	s_cbranch_vccnz .LBB17_35
; %bb.29:                               ;   in Loop: Header=BB17_4 Depth=1
	s_and_saveexec_b64 s[76:77], s[0:1]
	s_cbranch_execz .LBB17_34
; %bb.30:                               ;   in Loop: Header=BB17_4 Depth=1
	v_mov_b32_e32 v5, s52
	v_add_co_u32_e32 v4, vcc, s53, v26
	v_addc_co_u32_e32 v5, vcc, v27, v5, vcc
	s_mov_b64 s[78:79], 0
	v_mov_b32_e32 v12, v0
	s_branch .LBB17_32
.LBB17_31:                              ;   in Loop: Header=BB17_32 Depth=2
	v_add_u32_e32 v12, s4, v12
	v_cmp_le_i32_e32 vcc, s86, v12
	s_waitcnt vmcnt(0)
	global_store_dwordx2 v[6:7], v[10:11], off
	v_mov_b32_e32 v6, s61
	s_or_b64 s[78:79], vcc, s[78:79]
	v_add_co_u32_e32 v4, vcc, s60, v4
	v_addc_co_u32_e32 v5, vcc, v5, v6, vcc
	s_andn2_b64 exec, exec, s[78:79]
	s_cbranch_execz .LBB17_34
.LBB17_32:                              ;   Parent Loop BB17_4 Depth=1
                                        ; =>  This Loop Header: Depth=2
                                        ;       Child Loop BB17_33 Depth 3
	v_mad_i64_i32 v[6:7], s[44:45], v12, s20, 0
	v_lshlrev_b64 v[6:7], 3, v[6:7]
	v_mov_b32_e32 v8, s55
	v_add_co_u32_e32 v6, vcc, s54, v6
	v_addc_co_u32_e32 v7, vcc, v8, v7, vcc
	global_load_dwordx2 v[10:11], v[6:7], off
	s_andn2_b64 vcc, exec, s[30:31]
	v_pk_mov_b32 v[8:9], v[4:5], v[4:5] op_sel:[0,1]
	s_mov_b64 s[80:81], s[74:75]
	s_mov_b64 s[82:83], s[72:73]
	s_mov_b32 s44, s91
	s_cbranch_vccnz .LBB17_31
.LBB17_33:                              ;   Parent Loop BB17_4 Depth=1
                                        ;     Parent Loop BB17_32 Depth=2
                                        ; =>    This Inner Loop Header: Depth=3
	global_load_dwordx2 v[14:15], v35, s[80:81]
	global_load_dwordx2 v[16:17], v[8:9], off
	global_load_dwordx2 v[18:19], v35, s[82:83]
	s_add_i32 s44, s44, -1
	s_waitcnt vmcnt(3)
	v_pk_mov_b32 v[38:39], v[10:11], v[10:11] op_sel:[0,1]
	s_add_u32 s82, s82, -8
	s_addc_u32 s83, s83, -1
	s_add_u32 s80, s80, -8
	s_addc_u32 s81, s81, -1
	s_cmp_lt_u32 s44, 3
	s_waitcnt vmcnt(2)
	v_mul_f64 v[40:41], v[38:39], v[14:15]
	s_waitcnt vmcnt(1)
	v_mul_f64 v[10:11], v[14:15], v[16:17]
	s_waitcnt vmcnt(0)
	v_fma_f64 v[14:15], v[18:19], v[16:17], -v[40:41]
	global_store_dwordx2 v[8:9], v[14:15], off
	v_add_co_u32_e32 v8, vcc, -8, v8
	v_fmac_f64_e32 v[10:11], v[38:39], v[18:19]
	v_addc_co_u32_e32 v9, vcc, -1, v9, vcc
	s_cbranch_scc0 .LBB17_33
	s_branch .LBB17_31
.LBB17_34:                              ;   in Loop: Header=BB17_4 Depth=1
	s_or_b64 exec, exec, s[76:77]
	s_mov_b64 s[76:77], 0
.LBB17_35:                              ;   in Loop: Header=BB17_4 Depth=1
	s_andn2_b64 vcc, exec, s[76:77]
	s_cbranch_vccnz .LBB17_3
; %bb.36:                               ;   in Loop: Header=BB17_4 Depth=1
	s_andn2_b64 vcc, exec, s[38:39]
	s_mov_b64 s[76:77], -1
	s_cbranch_vccnz .LBB17_43
; %bb.37:                               ;   in Loop: Header=BB17_4 Depth=1
	s_and_saveexec_b64 s[76:77], s[0:1]
	s_cbranch_execz .LBB17_42
; %bb.38:                               ;   in Loop: Header=BB17_4 Depth=1
	s_lshl_b64 s[44:45], s[26:27], 3
	s_add_u32 s44, s54, s44
	s_addc_u32 s45, s55, s45
	v_mov_b32_e32 v5, s52
	v_add_co_u32_e32 v4, vcc, s53, v20
	s_add_u32 s48, s44, -8
	v_addc_co_u32_e32 v5, vcc, v21, v5, vcc
	s_addc_u32 s49, s45, -1
	s_mov_b64 s[78:79], 0
	v_mov_b32_e32 v12, v0
	s_branch .LBB17_40
.LBB17_39:                              ;   in Loop: Header=BB17_40 Depth=2
	v_add_u32_e32 v12, s4, v12
	v_cmp_le_i32_e32 vcc, s86, v12
	s_waitcnt vmcnt(0)
	global_store_dwordx2 v[6:7], v[8:9], off
	v_mov_b32_e32 v6, s61
	s_or_b64 s[78:79], vcc, s[78:79]
	v_add_co_u32_e32 v4, vcc, s60, v4
	v_addc_co_u32_e32 v5, vcc, v5, v6, vcc
	s_andn2_b64 exec, exec, s[78:79]
	s_cbranch_execz .LBB17_42
.LBB17_40:                              ;   Parent Loop BB17_4 Depth=1
                                        ; =>  This Loop Header: Depth=2
                                        ;       Child Loop BB17_41 Depth 3
	v_mad_i64_i32 v[6:7], s[44:45], v12, s20, 0
	v_lshlrev_b64 v[6:7], 3, v[6:7]
	v_mov_b32_e32 v8, s49
	v_add_co_u32_e32 v6, vcc, s48, v6
	v_addc_co_u32_e32 v7, vcc, v8, v7, vcc
	global_load_dwordx2 v[8:9], v[6:7], off
	s_andn2_b64 vcc, exec, s[30:31]
	v_pk_mov_b32 v[10:11], v[4:5], v[4:5] op_sel:[0,1]
	s_mov_b64 s[80:81], s[70:71]
	s_mov_b64 s[82:83], s[68:69]
	s_mov_b32 s44, s56
	s_cbranch_vccnz .LBB17_39
.LBB17_41:                              ;   Parent Loop BB17_4 Depth=1
                                        ;     Parent Loop BB17_40 Depth=2
                                        ; =>    This Inner Loop Header: Depth=3
	global_load_dwordx2 v[14:15], v[10:11], off
	global_load_dwordx2 v[16:17], v35, s[82:83]
	global_load_dwordx2 v[18:19], v35, s[80:81]
	s_add_i32 s44, s44, -1
	s_add_u32 s82, s82, 8
	s_addc_u32 s83, s83, 0
	s_add_u32 s80, s80, 8
	s_addc_u32 s81, s81, 0
	s_cmp_eq_u32 s44, 0
	s_waitcnt vmcnt(1)
	v_mul_f64 v[38:39], v[16:17], v[14:15]
	s_waitcnt vmcnt(0)
	v_fmac_f64_e32 v[38:39], v[8:9], v[18:19]
	v_mul_f64 v[14:15], v[18:19], v[14:15]
	global_store_dwordx2 v[10:11], v[38:39], off
	v_add_co_u32_e32 v10, vcc, 8, v10
	v_fma_f64 v[8:9], v[8:9], v[16:17], -v[14:15]
	v_addc_co_u32_e32 v11, vcc, 0, v11, vcc
	s_cbranch_scc0 .LBB17_41
	s_branch .LBB17_39
.LBB17_42:                              ;   in Loop: Header=BB17_4 Depth=1
	s_or_b64 exec, exec, s[76:77]
	s_mov_b64 s[76:77], 0
.LBB17_43:                              ;   in Loop: Header=BB17_4 Depth=1
	s_andn2_b64 vcc, exec, s[76:77]
	s_cbranch_vccnz .LBB17_3
; %bb.44:                               ;   in Loop: Header=BB17_4 Depth=1
	s_andn2_b64 vcc, exec, s[40:41]
	s_mov_b64 s[76:77], -1
	s_cbranch_vccnz .LBB17_51
; %bb.45:                               ;   in Loop: Header=BB17_4 Depth=1
	s_and_saveexec_b64 s[76:77], s[0:1]
	s_cbranch_execz .LBB17_50
; %bb.46:                               ;   in Loop: Header=BB17_4 Depth=1
	s_lshl_b64 s[44:45], s[26:27], 3
	s_add_u32 s44, s54, s44
	s_addc_u32 s45, s55, s45
	v_mov_b32_e32 v5, s52
	v_add_co_u32_e32 v4, vcc, s53, v22
	s_add_u32 s48, s44, -8
	v_addc_co_u32_e32 v5, vcc, v23, v5, vcc
	s_addc_u32 s49, s45, -1
	s_mov_b64 s[78:79], 0
	v_mov_b32_e32 v12, v0
	s_branch .LBB17_48
.LBB17_47:                              ;   in Loop: Header=BB17_48 Depth=2
	v_add_u32_e32 v12, s4, v12
	v_cmp_le_i32_e32 vcc, s86, v12
	s_waitcnt vmcnt(0)
	global_store_dwordx2 v[6:7], v[8:9], off
	v_mov_b32_e32 v6, s61
	s_or_b64 s[78:79], vcc, s[78:79]
	v_add_co_u32_e32 v4, vcc, s60, v4
	v_addc_co_u32_e32 v5, vcc, v5, v6, vcc
	s_andn2_b64 exec, exec, s[78:79]
	s_cbranch_execz .LBB17_50
.LBB17_48:                              ;   Parent Loop BB17_4 Depth=1
                                        ; =>  This Loop Header: Depth=2
                                        ;       Child Loop BB17_49 Depth 3
	v_mad_i64_i32 v[6:7], s[44:45], v12, s20, 0
	v_lshlrev_b64 v[6:7], 3, v[6:7]
	v_mov_b32_e32 v8, s49
	v_add_co_u32_e32 v6, vcc, s48, v6
	v_addc_co_u32_e32 v7, vcc, v8, v7, vcc
	global_load_dwordx2 v[8:9], v[6:7], off
	s_andn2_b64 vcc, exec, s[30:31]
	v_pk_mov_b32 v[10:11], v[4:5], v[4:5] op_sel:[0,1]
	s_mov_b64 s[80:81], s[74:75]
	s_mov_b64 s[82:83], s[72:73]
	s_mov_b32 s44, s56
	s_cbranch_vccnz .LBB17_47
.LBB17_49:                              ;   Parent Loop BB17_4 Depth=1
                                        ;     Parent Loop BB17_48 Depth=2
                                        ; =>    This Inner Loop Header: Depth=3
	global_load_dwordx2 v[14:15], v[10:11], off
	global_load_dwordx2 v[16:17], v35, s[82:83]
	global_load_dwordx2 v[18:19], v35, s[80:81]
	s_add_i32 s44, s44, -1
	s_add_u32 s82, s82, -8
	s_addc_u32 s83, s83, -1
	s_add_u32 s80, s80, -8
	s_addc_u32 s81, s81, -1
	s_cmp_eq_u32 s44, 0
	s_waitcnt vmcnt(1)
	v_mul_f64 v[38:39], v[16:17], v[14:15]
	s_waitcnt vmcnt(0)
	v_fmac_f64_e32 v[38:39], v[8:9], v[18:19]
	v_mul_f64 v[14:15], v[18:19], v[14:15]
	global_store_dwordx2 v[10:11], v[38:39], off
	v_add_co_u32_e32 v10, vcc, -8, v10
	v_fma_f64 v[8:9], v[8:9], v[16:17], -v[14:15]
	v_addc_co_u32_e32 v11, vcc, -1, v11, vcc
	s_cbranch_scc0 .LBB17_49
	s_branch .LBB17_47
.LBB17_50:                              ;   in Loop: Header=BB17_4 Depth=1
	s_or_b64 exec, exec, s[76:77]
	s_mov_b64 s[76:77], 0
.LBB17_51:                              ;   in Loop: Header=BB17_4 Depth=1
	s_andn2_b64 vcc, exec, s[76:77]
	s_cbranch_vccnz .LBB17_3
; %bb.52:                               ;   in Loop: Header=BB17_4 Depth=1
	v_mov_b32_e32 v5, s52
	v_add_co_u32_e32 v4, vcc, s53, v1
	v_addc_co_u32_e32 v5, vcc, v28, v5, vcc
	s_andn2_b64 vcc, exec, s[42:43]
	s_mov_b64 s[72:73], -1
	s_cbranch_vccnz .LBB17_59
; %bb.53:                               ;   in Loop: Header=BB17_4 Depth=1
	s_and_saveexec_b64 s[72:73], s[2:3]
	s_cbranch_execz .LBB17_58
; %bb.54:                               ;   in Loop: Header=BB17_4 Depth=1
	s_lshl_b64 s[44:45], s[62:63], 3
	s_add_u32 s48, s54, s44
	s_addc_u32 s49, s55, s45
	s_mov_b64 s[74:75], 0
	v_pk_mov_b32 v[6:7], v[4:5], v[4:5] op_sel:[0,1]
	v_mov_b32_e32 v8, v0
	s_branch .LBB17_56
.LBB17_55:                              ;   in Loop: Header=BB17_56 Depth=2
	v_mov_b32_e32 v9, s49
	v_add_co_u32_e32 v10, vcc, s48, v10
	v_addc_co_u32_e32 v11, vcc, v9, v11, vcc
	v_add_u32_e32 v8, s4, v8
	v_cmp_le_i32_e32 vcc, s19, v8
	v_mov_b32_e32 v9, s67
	s_or_b64 s[74:75], vcc, s[74:75]
	v_add_co_u32_e32 v6, vcc, s66, v6
	v_addc_co_u32_e32 v7, vcc, v7, v9, vcc
	s_waitcnt vmcnt(0)
	global_store_dwordx2 v[10:11], v[12:13], off
	s_andn2_b64 exec, exec, s[74:75]
	s_cbranch_execz .LBB17_58
.LBB17_56:                              ;   Parent Loop BB17_4 Depth=1
                                        ; =>  This Loop Header: Depth=2
                                        ;       Child Loop BB17_57 Depth 3
	v_ashrrev_i32_e32 v9, 31, v8
	v_lshlrev_b64 v[10:11], 3, v[8:9]
	v_mov_b32_e32 v9, s55
	v_add_co_u32_e32 v12, vcc, s54, v10
	v_addc_co_u32_e32 v13, vcc, v9, v11, vcc
	global_load_dwordx2 v[12:13], v[12:13], off
	s_andn2_b64 vcc, exec, s[46:47]
	s_mov_b64 s[76:77], s[70:71]
	s_mov_b64 s[78:79], s[68:69]
	v_pk_mov_b32 v[14:15], v[6:7], v[6:7] op_sel:[0,1]
	s_mov_b32 s44, s18
	s_cbranch_vccnz .LBB17_55
.LBB17_57:                              ;   Parent Loop BB17_4 Depth=1
                                        ;     Parent Loop BB17_56 Depth=2
                                        ; =>    This Inner Loop Header: Depth=3
	v_mov_b32_e32 v9, s65
	v_add_co_u32_e32 v18, vcc, s64, v14
	global_load_dwordx2 v[16:17], v35, s[76:77]
	v_addc_co_u32_e32 v19, vcc, v15, v9, vcc
	global_load_dwordx2 v[38:39], v[18:19], off
	global_load_dwordx2 v[40:41], v35, s[78:79]
	s_add_i32 s44, s44, -1
	s_add_u32 s78, s78, 8
	s_addc_u32 s79, s79, 0
	s_add_u32 s76, s76, 8
	s_addc_u32 s77, s77, 0
	s_cmp_eq_u32 s44, 0
	s_waitcnt vmcnt(2)
	v_mul_f64 v[42:43], v[12:13], v[16:17]
	s_waitcnt vmcnt(1)
	v_mul_f64 v[16:17], v[16:17], v[38:39]
	s_waitcnt vmcnt(0)
	v_fmac_f64_e32 v[16:17], v[12:13], v[40:41]
	v_fma_f64 v[12:13], v[40:41], v[38:39], -v[42:43]
	global_store_dwordx2 v[14:15], v[16:17], off
	v_pk_mov_b32 v[14:15], v[18:19], v[18:19] op_sel:[0,1]
	s_cbranch_scc0 .LBB17_57
	s_branch .LBB17_55
.LBB17_58:                              ;   in Loop: Header=BB17_4 Depth=1
	s_or_b64 exec, exec, s[72:73]
	s_mov_b64 s[72:73], 0
.LBB17_59:                              ;   in Loop: Header=BB17_4 Depth=1
	s_andn2_b64 vcc, exec, s[72:73]
	s_cbranch_vccnz .LBB17_3
; %bb.60:                               ;   in Loop: Header=BB17_4 Depth=1
	v_mov_b32_e32 v7, s52
	v_add_co_u32_e32 v6, vcc, s53, v31
	s_add_u32 s72, s5, s85
	v_addc_co_u32_e32 v7, vcc, v32, v7, vcc
	s_addc_u32 s73, s57, s84
	v_mov_b32_e32 v9, s52
	v_add_co_u32_e32 v8, vcc, s53, v29
	v_readlane_b32 s44, v37, 0
	s_add_u32 s74, s92, s51
	v_addc_co_u32_e32 v9, vcc, v30, v9, vcc
	v_readlane_b32 s45, v37, 1
	s_addc_u32 s75, s93, s50
	s_andn2_b64 vcc, exec, s[44:45]
	s_mov_b64 s[76:77], -1
	s_cbranch_vccnz .LBB17_68
; %bb.61:                               ;   in Loop: Header=BB17_4 Depth=1
	s_and_saveexec_b64 s[76:77], s[2:3]
	s_cbranch_execz .LBB17_67
; %bb.62:                               ;   in Loop: Header=BB17_4 Depth=1
	s_lshl_b64 s[44:45], s[62:63], 3
	s_add_u32 s50, s54, s44
	s_addc_u32 s51, s55, s45
	s_mov_b64 s[78:79], 0
	v_pk_mov_b32 v[10:11], v[6:7], v[6:7] op_sel:[0,1]
	v_pk_mov_b32 v[12:13], v[8:9], v[8:9] op_sel:[0,1]
	v_mov_b32_e32 v14, v0
	s_branch .LBB17_64
.LBB17_63:                              ;   in Loop: Header=BB17_64 Depth=2
	v_mov_b32_e32 v15, s55
	v_add_co_u32_e32 v16, vcc, s54, v16
	v_addc_co_u32_e32 v17, vcc, v15, v17, vcc
	v_mov_b32_e32 v15, s67
	v_add_co_u32_e32 v12, vcc, s66, v12
	v_add_u32_e32 v14, s4, v14
	v_addc_co_u32_e32 v13, vcc, v13, v15, vcc
	v_cmp_le_i32_e32 vcc, s19, v14
	s_or_b64 s[78:79], vcc, s[78:79]
	v_add_co_u32_e32 v10, vcc, s66, v10
	v_addc_co_u32_e32 v11, vcc, v11, v15, vcc
	s_waitcnt vmcnt(0)
	global_store_dwordx2 v[16:17], v[18:19], off
	s_andn2_b64 exec, exec, s[78:79]
	s_cbranch_execz .LBB17_67
.LBB17_64:                              ;   Parent Loop BB17_4 Depth=1
                                        ; =>  This Loop Header: Depth=2
                                        ;       Child Loop BB17_66 Depth 3
	v_ashrrev_i32_e32 v15, 31, v14
	v_lshlrev_b64 v[16:17], 3, v[14:15]
	v_mov_b32_e32 v15, s51
	v_add_co_u32_e32 v18, vcc, s50, v16
	v_addc_co_u32_e32 v19, vcc, v15, v17, vcc
	global_load_dwordx2 v[18:19], v[18:19], off
	s_andn2_b64 vcc, exec, s[46:47]
	s_cbranch_vccnz .LBB17_63
; %bb.65:                               ;   in Loop: Header=BB17_64 Depth=2
	s_mov_b64 s[80:81], 0
	s_mov_b64 s[82:83], s[74:75]
	;; [unrolled: 1-line block ×3, first 2 shown]
	s_mov_b32 s48, s18
.LBB17_66:                              ;   Parent Loop BB17_4 Depth=1
                                        ;     Parent Loop BB17_64 Depth=2
                                        ; =>    This Inner Loop Header: Depth=3
	v_mov_b32_e32 v15, s81
	v_add_co_u32_e32 v42, vcc, s80, v10
	v_addc_co_u32_e32 v43, vcc, v11, v15, vcc
	global_load_dwordx2 v[38:39], v35, s[84:85]
	global_load_dwordx2 v[40:41], v35, s[82:83]
	s_add_i32 s48, s48, -1
	global_load_dwordx2 v[42:43], v[42:43], off
	v_add_co_u32_e32 v46, vcc, s80, v12
	s_sub_u32 s80, s80, s64
	s_subb_u32 s81, s81, s65
	s_add_u32 s84, s84, -8
	s_addc_u32 s85, s85, -1
	s_add_u32 s82, s82, -8
	s_waitcnt vmcnt(3)
	v_pk_mov_b32 v[44:45], v[18:19], v[18:19] op_sel:[0,1]
	s_addc_u32 s83, s83, -1
	v_addc_co_u32_e32 v47, vcc, v13, v15, vcc
	s_cmp_eq_u32 s48, 0
	s_waitcnt vmcnt(0)
	v_mul_f64 v[48:49], v[40:41], v[42:43]
	v_mul_f64 v[18:19], v[38:39], v[42:43]
	v_fma_f64 v[38:39], v[44:45], v[38:39], -v[48:49]
	v_fmac_f64_e32 v[18:19], v[44:45], v[40:41]
	global_store_dwordx2 v[46:47], v[38:39], off
	s_cbranch_scc0 .LBB17_66
	s_branch .LBB17_63
.LBB17_67:                              ;   in Loop: Header=BB17_4 Depth=1
	s_or_b64 exec, exec, s[76:77]
	s_mov_b64 s[76:77], 0
.LBB17_68:                              ;   in Loop: Header=BB17_4 Depth=1
	s_andn2_b64 vcc, exec, s[76:77]
	s_cbranch_vccnz .LBB17_3
; %bb.69:                               ;   in Loop: Header=BB17_4 Depth=1
	v_readlane_b32 s44, v37, 2
	v_readlane_b32 s45, v37, 3
	s_andn2_b64 vcc, exec, s[44:45]
	s_mov_b64 s[76:77], -1
	s_cbranch_vccnz .LBB17_76
; %bb.70:                               ;   in Loop: Header=BB17_4 Depth=1
	s_and_saveexec_b64 s[76:77], s[2:3]
	s_cbranch_execz .LBB17_75
; %bb.71:                               ;   in Loop: Header=BB17_4 Depth=1
	v_mov_b32_e32 v11, s52
	v_add_co_u32_e32 v10, vcc, s53, v33
	v_addc_co_u32_e32 v11, vcc, v34, v11, vcc
	s_mov_b64 s[78:79], 0
	v_mov_b32_e32 v12, v0
	s_branch .LBB17_73
.LBB17_72:                              ;   in Loop: Header=BB17_73 Depth=2
	v_add_u32_e32 v12, s4, v12
	v_cmp_le_i32_e32 vcc, s19, v12
	v_mov_b32_e32 v13, s67
	s_or_b64 s[78:79], vcc, s[78:79]
	v_add_co_u32_e32 v10, vcc, s66, v10
	v_addc_co_u32_e32 v11, vcc, v11, v13, vcc
	s_waitcnt vmcnt(0)
	global_store_dwordx2 v[14:15], v[18:19], off
	s_andn2_b64 exec, exec, s[78:79]
	s_cbranch_execz .LBB17_75
.LBB17_73:                              ;   Parent Loop BB17_4 Depth=1
                                        ; =>  This Loop Header: Depth=2
                                        ;       Child Loop BB17_74 Depth 3
	v_ashrrev_i32_e32 v13, 31, v12
	v_lshlrev_b64 v[14:15], 3, v[12:13]
	v_mov_b32_e32 v13, s55
	v_add_co_u32_e32 v14, vcc, s54, v14
	v_addc_co_u32_e32 v15, vcc, v13, v15, vcc
	global_load_dwordx2 v[18:19], v[14:15], off
	s_andn2_b64 vcc, exec, s[46:47]
	v_pk_mov_b32 v[16:17], v[10:11], v[10:11] op_sel:[0,1]
	s_mov_b32 s48, s18
	s_mov_b64 s[80:81], s[68:69]
	s_mov_b64 s[82:83], s[70:71]
	s_cbranch_vccnz .LBB17_72
.LBB17_74:                              ;   Parent Loop BB17_4 Depth=1
                                        ;     Parent Loop BB17_73 Depth=2
                                        ; =>    This Inner Loop Header: Depth=3
	global_load_dwordx2 v[38:39], v35, s[82:83]
	global_load_dwordx2 v[40:41], v[16:17], off
	global_load_dwordx2 v[42:43], v35, s[80:81]
	s_waitcnt vmcnt(3)
	v_pk_mov_b32 v[44:45], v[18:19], v[18:19] op_sel:[0,1]
	s_add_u32 s82, s82, 8
	s_addc_u32 s83, s83, 0
	s_add_u32 s80, s80, 8
	v_mov_b32_e32 v13, s65
	s_addc_u32 s81, s81, 0
	s_add_i32 s48, s48, -1
	s_cmp_eq_u32 s48, 0
	s_waitcnt vmcnt(2)
	v_mul_f64 v[46:47], v[44:45], v[38:39]
	s_waitcnt vmcnt(1)
	v_mul_f64 v[18:19], v[38:39], v[40:41]
	s_waitcnt vmcnt(0)
	v_fma_f64 v[38:39], v[42:43], v[40:41], -v[46:47]
	global_store_dwordx2 v[16:17], v[38:39], off
	v_add_co_u32_e32 v16, vcc, s64, v16
	v_fmac_f64_e32 v[18:19], v[44:45], v[42:43]
	v_addc_co_u32_e32 v17, vcc, v17, v13, vcc
	s_cbranch_scc0 .LBB17_74
	s_branch .LBB17_72
.LBB17_75:                              ;   in Loop: Header=BB17_4 Depth=1
	s_or_b64 exec, exec, s[76:77]
	s_mov_b64 s[76:77], 0
.LBB17_76:                              ;   in Loop: Header=BB17_4 Depth=1
	s_andn2_b64 vcc, exec, s[76:77]
	s_cbranch_vccnz .LBB17_3
; %bb.77:                               ;   in Loop: Header=BB17_4 Depth=1
	v_readlane_b32 s44, v37, 4
	v_readlane_b32 s45, v37, 5
	s_andn2_b64 vcc, exec, s[44:45]
	s_mov_b64 s[76:77], -1
	s_cbranch_vccnz .LBB17_84
; %bb.78:                               ;   in Loop: Header=BB17_4 Depth=1
	s_and_saveexec_b64 s[76:77], s[2:3]
	s_cbranch_execz .LBB17_83
; %bb.79:                               ;   in Loop: Header=BB17_4 Depth=1
	s_mov_b64 s[78:79], 0
	v_mov_b32_e32 v10, v0
	s_branch .LBB17_81
.LBB17_80:                              ;   in Loop: Header=BB17_81 Depth=2
	v_add_u32_e32 v10, s4, v10
	v_cmp_le_i32_e32 vcc, s19, v10
	v_mov_b32_e32 v11, s67
	s_or_b64 s[78:79], vcc, s[78:79]
	v_add_co_u32_e32 v8, vcc, s66, v8
	v_addc_co_u32_e32 v9, vcc, v9, v11, vcc
	s_waitcnt vmcnt(0)
	global_store_dwordx2 v[12:13], v[16:17], off
	s_andn2_b64 exec, exec, s[78:79]
	s_cbranch_execz .LBB17_83
.LBB17_81:                              ;   Parent Loop BB17_4 Depth=1
                                        ; =>  This Loop Header: Depth=2
                                        ;       Child Loop BB17_82 Depth 3
	v_ashrrev_i32_e32 v11, 31, v10
	v_lshlrev_b64 v[12:13], 3, v[10:11]
	v_mov_b32_e32 v11, s55
	v_add_co_u32_e32 v12, vcc, s54, v12
	v_addc_co_u32_e32 v13, vcc, v11, v13, vcc
	global_load_dwordx2 v[16:17], v[12:13], off
	s_andn2_b64 vcc, exec, s[46:47]
	v_pk_mov_b32 v[14:15], v[8:9], v[8:9] op_sel:[0,1]
	s_mov_b64 s[80:81], s[74:75]
	s_mov_b64 s[82:83], s[72:73]
	s_mov_b32 s48, s21
	s_cbranch_vccnz .LBB17_80
.LBB17_82:                              ;   Parent Loop BB17_4 Depth=1
                                        ;     Parent Loop BB17_81 Depth=2
                                        ; =>    This Inner Loop Header: Depth=3
	global_load_dwordx2 v[18:19], v35, s[80:81]
	global_load_dwordx2 v[38:39], v[14:15], off
	global_load_dwordx2 v[40:41], v35, s[82:83]
	s_add_i32 s48, s48, -1
	s_waitcnt vmcnt(3)
	v_pk_mov_b32 v[42:43], v[16:17], v[16:17] op_sel:[0,1]
	s_add_u32 s82, s82, -8
	s_addc_u32 s83, s83, -1
	s_add_u32 s80, s80, -8
	v_mov_b32_e32 v11, s95
	s_addc_u32 s81, s81, -1
	s_cmp_lt_u32 s48, 3
	s_waitcnt vmcnt(2)
	v_mul_f64 v[44:45], v[42:43], v[18:19]
	s_waitcnt vmcnt(1)
	v_mul_f64 v[16:17], v[18:19], v[38:39]
	s_waitcnt vmcnt(0)
	v_fma_f64 v[18:19], v[40:41], v[38:39], -v[44:45]
	global_store_dwordx2 v[14:15], v[18:19], off
	v_add_co_u32_e32 v14, vcc, s94, v14
	v_fmac_f64_e32 v[16:17], v[42:43], v[40:41]
	v_addc_co_u32_e32 v15, vcc, v15, v11, vcc
	s_cbranch_scc0 .LBB17_82
	s_branch .LBB17_80
.LBB17_83:                              ;   in Loop: Header=BB17_4 Depth=1
	s_or_b64 exec, exec, s[76:77]
	s_mov_b64 s[76:77], 0
.LBB17_84:                              ;   in Loop: Header=BB17_4 Depth=1
	s_andn2_b64 vcc, exec, s[76:77]
	s_cbranch_vccnz .LBB17_3
; %bb.85:                               ;   in Loop: Header=BB17_4 Depth=1
	v_readlane_b32 s44, v37, 6
	v_readlane_b32 s45, v37, 7
	s_andn2_b64 vcc, exec, s[44:45]
	s_mov_b64 s[76:77], -1
	s_cbranch_vccnz .LBB17_92
; %bb.86:                               ;   in Loop: Header=BB17_4 Depth=1
	s_and_saveexec_b64 s[76:77], s[2:3]
	s_cbranch_execz .LBB17_91
; %bb.87:                               ;   in Loop: Header=BB17_4 Depth=1
	s_lshl_b64 s[44:45], s[62:63], 3
	s_add_u32 s48, s54, s44
	s_addc_u32 s49, s55, s45
	s_mov_b64 s[78:79], 0
	v_mov_b32_e32 v8, v0
	s_branch .LBB17_89
.LBB17_88:                              ;   in Loop: Header=BB17_89 Depth=2
	v_add_u32_e32 v8, s4, v8
	v_cmp_le_i32_e32 vcc, s19, v8
	v_mov_b32_e32 v9, s67
	s_or_b64 s[78:79], vcc, s[78:79]
	v_add_co_u32_e32 v4, vcc, s66, v4
	v_addc_co_u32_e32 v5, vcc, v5, v9, vcc
	s_waitcnt vmcnt(0)
	global_store_dwordx2 v[10:11], v[12:13], off
	s_andn2_b64 exec, exec, s[78:79]
	s_cbranch_execz .LBB17_91
.LBB17_89:                              ;   Parent Loop BB17_4 Depth=1
                                        ; =>  This Loop Header: Depth=2
                                        ;       Child Loop BB17_90 Depth 3
	v_ashrrev_i32_e32 v9, 31, v8
	v_lshlrev_b64 v[10:11], 3, v[8:9]
	v_mov_b32_e32 v9, s49
	v_add_co_u32_e32 v10, vcc, s48, v10
	v_addc_co_u32_e32 v11, vcc, v9, v11, vcc
	global_load_dwordx2 v[12:13], v[10:11], off
	s_andn2_b64 vcc, exec, s[46:47]
	v_pk_mov_b32 v[14:15], v[4:5], v[4:5] op_sel:[0,1]
	s_mov_b64 s[80:81], s[70:71]
	s_mov_b64 s[82:83], s[68:69]
	s_mov_b32 s50, s18
	s_cbranch_vccnz .LBB17_88
.LBB17_90:                              ;   Parent Loop BB17_4 Depth=1
                                        ;     Parent Loop BB17_89 Depth=2
                                        ; =>    This Inner Loop Header: Depth=3
	global_load_dwordx2 v[16:17], v[14:15], off
	global_load_dwordx2 v[18:19], v35, s[82:83]
	global_load_dwordx2 v[38:39], v35, s[80:81]
	s_add_i32 s50, s50, -1
	s_add_u32 s82, s82, 8
	s_addc_u32 s83, s83, 0
	s_add_u32 s80, s80, 8
	v_mov_b32_e32 v9, s65
	s_addc_u32 s81, s81, 0
	s_cmp_eq_u32 s50, 0
	s_waitcnt vmcnt(1)
	v_mul_f64 v[40:41], v[18:19], v[16:17]
	s_waitcnt vmcnt(0)
	v_fmac_f64_e32 v[40:41], v[12:13], v[38:39]
	v_mul_f64 v[16:17], v[38:39], v[16:17]
	global_store_dwordx2 v[14:15], v[40:41], off
	v_add_co_u32_e32 v14, vcc, s64, v14
	v_fma_f64 v[12:13], v[12:13], v[18:19], -v[16:17]
	v_addc_co_u32_e32 v15, vcc, v15, v9, vcc
	s_cbranch_scc0 .LBB17_90
	s_branch .LBB17_88
.LBB17_91:                              ;   in Loop: Header=BB17_4 Depth=1
	s_or_b64 exec, exec, s[76:77]
	s_mov_b64 s[76:77], 0
.LBB17_92:                              ;   in Loop: Header=BB17_4 Depth=1
	s_andn2_b64 vcc, exec, s[76:77]
	s_cbranch_vccnz .LBB17_3
; %bb.93:                               ;   in Loop: Header=BB17_4 Depth=1
	s_mov_b64 s[68:69], exec
	v_readlane_b32 s44, v37, 8
	v_readlane_b32 s45, v37, 9
	s_and_b64 s[44:45], s[68:69], s[44:45]
	s_mov_b64 exec, s[44:45]
	s_cbranch_execz .LBB17_2
; %bb.94:                               ;   in Loop: Header=BB17_4 Depth=1
	s_lshl_b64 s[44:45], s[62:63], 3
	s_add_u32 s48, s54, s44
	s_addc_u32 s49, s55, s45
	s_mov_b64 s[70:71], 0
	v_mov_b32_e32 v4, v0
	s_branch .LBB17_96
.LBB17_95:                              ;   in Loop: Header=BB17_96 Depth=2
	v_add_u32_e32 v4, s4, v4
	v_cmp_le_i32_e32 vcc, s19, v4
	v_mov_b32_e32 v5, s67
	s_or_b64 s[70:71], vcc, s[70:71]
	v_add_co_u32_e32 v6, vcc, s66, v6
	v_addc_co_u32_e32 v7, vcc, v7, v5, vcc
	s_waitcnt vmcnt(0)
	global_store_dwordx2 v[8:9], v[10:11], off
	s_andn2_b64 exec, exec, s[70:71]
	s_cbranch_execz .LBB17_2
.LBB17_96:                              ;   Parent Loop BB17_4 Depth=1
                                        ; =>  This Loop Header: Depth=2
                                        ;       Child Loop BB17_97 Depth 3
	v_ashrrev_i32_e32 v5, 31, v4
	v_lshlrev_b64 v[8:9], 3, v[4:5]
	v_mov_b32_e32 v5, s49
	v_add_co_u32_e32 v8, vcc, s48, v8
	v_addc_co_u32_e32 v9, vcc, v5, v9, vcc
	global_load_dwordx2 v[10:11], v[8:9], off
	s_andn2_b64 vcc, exec, s[46:47]
	v_pk_mov_b32 v[12:13], v[6:7], v[6:7] op_sel:[0,1]
	s_mov_b64 s[76:77], s[74:75]
	s_mov_b64 s[78:79], s[72:73]
	s_mov_b32 s50, s18
	s_cbranch_vccnz .LBB17_95
.LBB17_97:                              ;   Parent Loop BB17_4 Depth=1
                                        ;     Parent Loop BB17_96 Depth=2
                                        ; =>    This Inner Loop Header: Depth=3
	global_load_dwordx2 v[14:15], v[12:13], off
	global_load_dwordx2 v[16:17], v35, s[78:79]
	global_load_dwordx2 v[18:19], v35, s[76:77]
	s_add_i32 s50, s50, -1
	s_add_u32 s78, s78, -8
	s_addc_u32 s79, s79, -1
	s_add_u32 s76, s76, -8
	v_mov_b32_e32 v5, s95
	s_addc_u32 s77, s77, -1
	s_cmp_eq_u32 s50, 0
	s_waitcnt vmcnt(1)
	v_mul_f64 v[38:39], v[16:17], v[14:15]
	s_waitcnt vmcnt(0)
	v_fmac_f64_e32 v[38:39], v[10:11], v[18:19]
	v_mul_f64 v[14:15], v[18:19], v[14:15]
	global_store_dwordx2 v[12:13], v[38:39], off
	v_add_co_u32_e32 v12, vcc, s94, v12
	v_fma_f64 v[10:11], v[10:11], v[16:17], -v[14:15]
	v_addc_co_u32_e32 v13, vcc, v13, v5, vcc
	s_cbranch_scc0 .LBB17_97
	s_branch .LBB17_95
.LBB17_98:
	s_endpgm
	.section	.rodata,"a",@progbits
	.p2align	6, 0x0
	.amdhsa_kernel _ZN9rocsolver6v33100L11lasr_kernelIddPdiEEv13rocblas_side_14rocblas_pivot_15rocblas_direct_T2_S6_PT0_lS8_lT1_lS6_lS6_
		.amdhsa_group_segment_fixed_size 0
		.amdhsa_private_segment_fixed_size 0
		.amdhsa_kernarg_size 352
		.amdhsa_user_sgpr_count 6
		.amdhsa_user_sgpr_private_segment_buffer 1
		.amdhsa_user_sgpr_dispatch_ptr 0
		.amdhsa_user_sgpr_queue_ptr 0
		.amdhsa_user_sgpr_kernarg_segment_ptr 1
		.amdhsa_user_sgpr_dispatch_id 0
		.amdhsa_user_sgpr_flat_scratch_init 0
		.amdhsa_user_sgpr_kernarg_preload_length 0
		.amdhsa_user_sgpr_kernarg_preload_offset 0
		.amdhsa_user_sgpr_private_segment_size 0
		.amdhsa_uses_dynamic_stack 0
		.amdhsa_system_sgpr_private_segment_wavefront_offset 0
		.amdhsa_system_sgpr_workgroup_id_x 1
		.amdhsa_system_sgpr_workgroup_id_y 0
		.amdhsa_system_sgpr_workgroup_id_z 1
		.amdhsa_system_sgpr_workgroup_info 0
		.amdhsa_system_vgpr_workitem_id 0
		.amdhsa_next_free_vgpr 50
		.amdhsa_next_free_sgpr 96
		.amdhsa_accum_offset 52
		.amdhsa_reserve_vcc 1
		.amdhsa_reserve_flat_scratch 0
		.amdhsa_float_round_mode_32 0
		.amdhsa_float_round_mode_16_64 0
		.amdhsa_float_denorm_mode_32 3
		.amdhsa_float_denorm_mode_16_64 3
		.amdhsa_dx10_clamp 1
		.amdhsa_ieee_mode 1
		.amdhsa_fp16_overflow 0
		.amdhsa_tg_split 0
		.amdhsa_exception_fp_ieee_invalid_op 0
		.amdhsa_exception_fp_denorm_src 0
		.amdhsa_exception_fp_ieee_div_zero 0
		.amdhsa_exception_fp_ieee_overflow 0
		.amdhsa_exception_fp_ieee_underflow 0
		.amdhsa_exception_fp_ieee_inexact 0
		.amdhsa_exception_int_div_zero 0
	.end_amdhsa_kernel
	.section	.text._ZN9rocsolver6v33100L11lasr_kernelIddPdiEEv13rocblas_side_14rocblas_pivot_15rocblas_direct_T2_S6_PT0_lS8_lT1_lS6_lS6_,"axG",@progbits,_ZN9rocsolver6v33100L11lasr_kernelIddPdiEEv13rocblas_side_14rocblas_pivot_15rocblas_direct_T2_S6_PT0_lS8_lT1_lS6_lS6_,comdat
.Lfunc_end17:
	.size	_ZN9rocsolver6v33100L11lasr_kernelIddPdiEEv13rocblas_side_14rocblas_pivot_15rocblas_direct_T2_S6_PT0_lS8_lT1_lS6_lS6_, .Lfunc_end17-_ZN9rocsolver6v33100L11lasr_kernelIddPdiEEv13rocblas_side_14rocblas_pivot_15rocblas_direct_T2_S6_PT0_lS8_lT1_lS6_lS6_
                                        ; -- End function
	.section	.AMDGPU.csdata,"",@progbits
; Kernel info:
; codeLenInByte = 4628
; NumSgprs: 100
; NumVgprs: 50
; NumAgprs: 0
; TotalNumVgprs: 50
; ScratchSize: 0
; MemoryBound: 0
; FloatMode: 240
; IeeeMode: 1
; LDSByteSize: 0 bytes/workgroup (compile time only)
; SGPRBlocks: 12
; VGPRBlocks: 6
; NumSGPRsForWavesPerEU: 100
; NumVGPRsForWavesPerEU: 50
; AccumOffset: 52
; Occupancy: 8
; WaveLimiterHint : 0
; COMPUTE_PGM_RSRC2:SCRATCH_EN: 0
; COMPUTE_PGM_RSRC2:USER_SGPR: 6
; COMPUTE_PGM_RSRC2:TRAP_HANDLER: 0
; COMPUTE_PGM_RSRC2:TGID_X_EN: 1
; COMPUTE_PGM_RSRC2:TGID_Y_EN: 0
; COMPUTE_PGM_RSRC2:TGID_Z_EN: 1
; COMPUTE_PGM_RSRC2:TIDIG_COMP_CNT: 0
; COMPUTE_PGM_RSRC3_GFX90A:ACCUM_OFFSET: 12
; COMPUTE_PGM_RSRC3_GFX90A:TG_SPLIT: 0
	.section	.text._ZN9rocsolver6v33100L11scal_kernelIddiEEvT1_T_PT0_S2_,"axG",@progbits,_ZN9rocsolver6v33100L11scal_kernelIddiEEvT1_T_PT0_S2_,comdat
	.globl	_ZN9rocsolver6v33100L11scal_kernelIddiEEvT1_T_PT0_S2_ ; -- Begin function _ZN9rocsolver6v33100L11scal_kernelIddiEEvT1_T_PT0_S2_
	.p2align	8
	.type	_ZN9rocsolver6v33100L11scal_kernelIddiEEvT1_T_PT0_S2_,@function
_ZN9rocsolver6v33100L11scal_kernelIddiEEvT1_T_PT0_S2_: ; @_ZN9rocsolver6v33100L11scal_kernelIddiEEvT1_T_PT0_S2_
; %bb.0:
	s_load_dword s14, s[4:5], 0x0
	s_waitcnt lgkmcnt(0)
	s_cmp_lt_i32 s14, 1
	s_cbranch_scc1 .LBB18_10
; %bb.1:
	s_load_dword s0, s[4:5], 0x2c
	s_load_dword s1, s[4:5], 0x20
	s_load_dwordx4 s[8:11], s[4:5], 0x8
	s_load_dword s3, s[4:5], 0x18
	s_mov_b64 s[4:5], -1
	s_waitcnt lgkmcnt(0)
	s_and_b32 s0, s0, 0xffff
	s_mul_i32 s6, s6, s0
	v_add_u32_e32 v0, s6, v0
	s_mul_i32 s2, s1, s0
	s_cmp_eq_u32 s3, 1
	v_cmp_gt_i32_e64 s[0:1], s14, v0
	s_cbranch_scc1 .LBB18_6
; %bb.2:
	s_and_saveexec_b64 s[4:5], s[0:1]
	s_cbranch_execz .LBB18_5
; %bb.3:
	v_mad_i64_i32 v[2:3], s[6:7], s3, v0, 0
	v_lshlrev_b64 v[2:3], 3, v[2:3]
	s_mul_hi_i32 s7, s3, s2
	s_mul_i32 s6, s3, s2
	v_mov_b32_e32 v1, s11
	v_add_co_u32_e32 v2, vcc, s10, v2
	s_lshl_b64 s[6:7], s[6:7], 3
	v_addc_co_u32_e32 v3, vcc, v1, v3, vcc
	s_mov_b64 s[12:13], 0
	v_mov_b32_e32 v1, s7
	v_mov_b32_e32 v4, v0
.LBB18_4:                               ; =>This Inner Loop Header: Depth=1
	global_load_dwordx2 v[6:7], v[2:3], off
	v_add_u32_e32 v4, s2, v4
	v_cmp_le_i32_e32 vcc, s14, v4
	s_or_b64 s[12:13], vcc, s[12:13]
	s_waitcnt vmcnt(0)
	v_mul_f64 v[6:7], v[6:7], s[8:9]
	global_store_dwordx2 v[2:3], v[6:7], off
	v_add_co_u32_e32 v2, vcc, s6, v2
	v_addc_co_u32_e32 v3, vcc, v3, v1, vcc
	s_andn2_b64 exec, exec, s[12:13]
	s_cbranch_execnz .LBB18_4
.LBB18_5:
	s_or_b64 exec, exec, s[4:5]
	s_mov_b64 s[4:5], 0
.LBB18_6:
	s_andn2_b64 vcc, exec, s[4:5]
	s_cbranch_vccnz .LBB18_10
; %bb.7:
	s_and_saveexec_b64 s[4:5], s[0:1]
	s_cbranch_execz .LBB18_10
; %bb.8:
	v_ashrrev_i32_e32 v1, 31, v0
	v_lshlrev_b64 v[2:3], 3, v[0:1]
	s_ashr_i32 s3, s2, 31
	v_mov_b32_e32 v1, s11
	v_add_co_u32_e32 v2, vcc, s10, v2
	s_lshl_b64 s[0:1], s[2:3], 3
	v_addc_co_u32_e32 v3, vcc, v1, v3, vcc
	s_mov_b64 s[4:5], 0
	v_mov_b32_e32 v1, s1
.LBB18_9:                               ; =>This Inner Loop Header: Depth=1
	global_load_dwordx2 v[4:5], v[2:3], off
	v_add_u32_e32 v0, s2, v0
	v_cmp_le_i32_e32 vcc, s14, v0
	s_or_b64 s[4:5], vcc, s[4:5]
	s_waitcnt vmcnt(0)
	v_mul_f64 v[4:5], v[4:5], s[8:9]
	global_store_dwordx2 v[2:3], v[4:5], off
	v_add_co_u32_e32 v2, vcc, s0, v2
	v_addc_co_u32_e32 v3, vcc, v3, v1, vcc
	s_andn2_b64 exec, exec, s[4:5]
	s_cbranch_execnz .LBB18_9
.LBB18_10:
	s_endpgm
	.section	.rodata,"a",@progbits
	.p2align	6, 0x0
	.amdhsa_kernel _ZN9rocsolver6v33100L11scal_kernelIddiEEvT1_T_PT0_S2_
		.amdhsa_group_segment_fixed_size 0
		.amdhsa_private_segment_fixed_size 0
		.amdhsa_kernarg_size 288
		.amdhsa_user_sgpr_count 6
		.amdhsa_user_sgpr_private_segment_buffer 1
		.amdhsa_user_sgpr_dispatch_ptr 0
		.amdhsa_user_sgpr_queue_ptr 0
		.amdhsa_user_sgpr_kernarg_segment_ptr 1
		.amdhsa_user_sgpr_dispatch_id 0
		.amdhsa_user_sgpr_flat_scratch_init 0
		.amdhsa_user_sgpr_kernarg_preload_length 0
		.amdhsa_user_sgpr_kernarg_preload_offset 0
		.amdhsa_user_sgpr_private_segment_size 0
		.amdhsa_uses_dynamic_stack 0
		.amdhsa_system_sgpr_private_segment_wavefront_offset 0
		.amdhsa_system_sgpr_workgroup_id_x 1
		.amdhsa_system_sgpr_workgroup_id_y 0
		.amdhsa_system_sgpr_workgroup_id_z 0
		.amdhsa_system_sgpr_workgroup_info 0
		.amdhsa_system_vgpr_workitem_id 0
		.amdhsa_next_free_vgpr 8
		.amdhsa_next_free_sgpr 15
		.amdhsa_accum_offset 8
		.amdhsa_reserve_vcc 1
		.amdhsa_reserve_flat_scratch 0
		.amdhsa_float_round_mode_32 0
		.amdhsa_float_round_mode_16_64 0
		.amdhsa_float_denorm_mode_32 3
		.amdhsa_float_denorm_mode_16_64 3
		.amdhsa_dx10_clamp 1
		.amdhsa_ieee_mode 1
		.amdhsa_fp16_overflow 0
		.amdhsa_tg_split 0
		.amdhsa_exception_fp_ieee_invalid_op 0
		.amdhsa_exception_fp_denorm_src 0
		.amdhsa_exception_fp_ieee_div_zero 0
		.amdhsa_exception_fp_ieee_overflow 0
		.amdhsa_exception_fp_ieee_underflow 0
		.amdhsa_exception_fp_ieee_inexact 0
		.amdhsa_exception_int_div_zero 0
	.end_amdhsa_kernel
	.section	.text._ZN9rocsolver6v33100L11scal_kernelIddiEEvT1_T_PT0_S2_,"axG",@progbits,_ZN9rocsolver6v33100L11scal_kernelIddiEEvT1_T_PT0_S2_,comdat
.Lfunc_end18:
	.size	_ZN9rocsolver6v33100L11scal_kernelIddiEEvT1_T_PT0_S2_, .Lfunc_end18-_ZN9rocsolver6v33100L11scal_kernelIddiEEvT1_T_PT0_S2_
                                        ; -- End function
	.section	.AMDGPU.csdata,"",@progbits
; Kernel info:
; codeLenInByte = 336
; NumSgprs: 19
; NumVgprs: 8
; NumAgprs: 0
; TotalNumVgprs: 8
; ScratchSize: 0
; MemoryBound: 0
; FloatMode: 240
; IeeeMode: 1
; LDSByteSize: 0 bytes/workgroup (compile time only)
; SGPRBlocks: 2
; VGPRBlocks: 0
; NumSGPRsForWavesPerEU: 19
; NumVGPRsForWavesPerEU: 8
; AccumOffset: 8
; Occupancy: 8
; WaveLimiterHint : 0
; COMPUTE_PGM_RSRC2:SCRATCH_EN: 0
; COMPUTE_PGM_RSRC2:USER_SGPR: 6
; COMPUTE_PGM_RSRC2:TRAP_HANDLER: 0
; COMPUTE_PGM_RSRC2:TGID_X_EN: 1
; COMPUTE_PGM_RSRC2:TGID_Y_EN: 0
; COMPUTE_PGM_RSRC2:TGID_Z_EN: 0
; COMPUTE_PGM_RSRC2:TIDIG_COMP_CNT: 0
; COMPUTE_PGM_RSRC3_GFX90A:ACCUM_OFFSET: 1
; COMPUTE_PGM_RSRC3_GFX90A:TG_SPLIT: 0
	.section	.text._ZN9rocsolver6v33100L17bdsqr_lower2upperIddPdS2_EEviiiPT0_lS4_lT1_iilT2_iilPiS4_lS7_,"axG",@progbits,_ZN9rocsolver6v33100L17bdsqr_lower2upperIddPdS2_EEviiiPT0_lS4_lT1_iilT2_iilPiS4_lS7_,comdat
	.globl	_ZN9rocsolver6v33100L17bdsqr_lower2upperIddPdS2_EEviiiPT0_lS4_lT1_iilT2_iilPiS4_lS7_ ; -- Begin function _ZN9rocsolver6v33100L17bdsqr_lower2upperIddPdS2_EEviiiPT0_lS4_lT1_iilT2_iilPiS4_lS7_
	.p2align	8
	.type	_ZN9rocsolver6v33100L17bdsqr_lower2upperIddPdS2_EEviiiPT0_lS4_lT1_iilT2_iilPiS4_lS7_,@function
_ZN9rocsolver6v33100L17bdsqr_lower2upperIddPdS2_EEviiiPT0_lS4_lT1_iilT2_iilPiS4_lS7_: ; @_ZN9rocsolver6v33100L17bdsqr_lower2upperIddPdS2_EEviiiPT0_lS4_lT1_iilT2_iilPiS4_lS7_
; %bb.0:
	s_load_dwordx2 s[0:1], s[4:5], 0x78
	s_mov_b32 s26, s7
	s_ashr_i32 s27, s7, 31
	s_lshl_b64 s[2:3], s[26:27], 2
	s_waitcnt lgkmcnt(0)
	s_add_u32 s0, s0, s2
	s_addc_u32 s1, s1, s3
	s_load_dword s0, s[0:1], 0x8
	s_waitcnt lgkmcnt(0)
	s_cmp_lg_u32 s0, 0
	s_cbranch_scc1 .LBB19_34
; %bb.1:
	s_load_dwordx8 s[8:15], s[4:5], 0x30
	s_load_dwordx4 s[0:3], s[4:5], 0x68
	s_mov_b64 s[6:7], 0
	s_mov_b64 s[24:25], 0
	s_waitcnt lgkmcnt(0)
	s_cmp_eq_u64 s[8:9], 0
	s_cbranch_scc1 .LBB19_3
; %bb.2:
	s_ashr_i32 s17, s10, 31
	s_mov_b32 s16, s10
	s_mul_i32 s10, s26, s13
	s_mul_hi_u32 s13, s26, s12
	s_add_i32 s10, s13, s10
	s_mul_i32 s13, s27, s12
	s_add_i32 s13, s10, s13
	s_mul_i32 s12, s26, s12
	s_lshl_b64 s[12:13], s[12:13], 3
	s_add_u32 s10, s8, s12
	s_addc_u32 s12, s9, s13
	s_lshl_b64 s[8:9], s[16:17], 3
	s_add_u32 s24, s10, s8
	s_addc_u32 s25, s12, s9
.LBB19_3:
	s_load_dwordx2 s[8:9], s[4:5], 0x50
	s_cmp_eq_u64 s[14:15], 0
	s_cbranch_scc1 .LBB19_5
; %bb.4:
	s_load_dwordx2 s[6:7], s[4:5], 0x58
	s_waitcnt lgkmcnt(0)
	s_ashr_i32 s13, s8, 31
	s_mov_b32 s12, s8
	s_mul_i32 s7, s26, s7
	s_mul_hi_u32 s8, s26, s6
	s_mul_i32 s10, s27, s6
	s_add_i32 s7, s8, s7
	s_add_i32 s7, s7, s10
	s_mul_i32 s6, s26, s6
	s_lshl_b64 s[6:7], s[6:7], 3
	s_add_u32 s8, s14, s6
	s_addc_u32 s10, s15, s7
	s_lshl_b64 s[6:7], s[12:13], 3
	s_add_u32 s6, s8, s6
	s_addc_u32 s7, s10, s7
.LBB19_5:
	s_mul_i32 s3, s26, s3
	s_waitcnt lgkmcnt(0)
	s_mul_hi_u32 s8, s26, s2
	s_load_dwordx4 s[20:23], s[4:5], 0x0
	s_add_i32 s3, s8, s3
	s_mul_i32 s8, s27, s2
	s_add_i32 s3, s3, s8
	s_mul_i32 s2, s26, s2
	s_lshl_b64 s[2:3], s[2:3], 3
	s_add_u32 s8, s0, s2
	s_waitcnt lgkmcnt(0)
	s_addc_u32 s23, s1, s3
	v_cmp_eq_u32_e32 vcc, 0, v0
	s_and_saveexec_b64 s[0:1], vcc
	s_cbranch_execz .LBB19_22
; %bb.6:
	s_load_dwordx8 s[12:19], s[4:5], 0x10
	s_waitcnt lgkmcnt(0)
	s_mul_i32 s2, s26, s15
	s_mul_hi_u32 s3, s26, s14
	s_mul_i32 s10, s27, s14
	s_add_i32 s2, s3, s2
	s_add_i32 s3, s2, s10
	s_mul_i32 s2, s26, s14
	s_lshl_b64 s[28:29], s[2:3], 3
	s_add_u32 s2, s12, s28
	s_addc_u32 s3, s13, s29
	s_load_dwordx2 s[30:31], s[2:3], 0x0
	s_add_i32 s14, s20, -1
	s_cmp_lt_i32 s20, 2
	s_waitcnt lgkmcnt(0)
	v_pk_mov_b32 v[4:5], s[30:31], s[30:31] op_sel:[0,1]
	s_cbranch_scc1 .LBB19_21
; %bb.7:
	s_mul_i32 s10, s26, s19
	s_mul_hi_u32 s15, s26, s18
	s_add_i32 s10, s15, s10
	s_mul_i32 s15, s27, s18
	s_add_i32 s19, s10, s15
	s_mul_i32 s18, s26, s18
	s_lshl_b64 s[18:19], s[18:19], 3
	s_add_u32 s34, s18, s16
	s_addc_u32 s35, s19, s17
	s_or_b32 s10, s22, s21
	s_cmp_lg_u32 s10, 0
	s_cselect_b64 s[18:19], -1, 0
	s_add_u32 s26, s8, 32
	s_addc_u32 s27, s23, 0
	s_load_dwordx2 s[36:37], s[34:35], 0x0
	s_add_u32 s10, s28, s12
	s_addc_u32 s13, s29, s13
	s_add_u32 s12, s10, 8
	s_addc_u32 s13, s13, 0
	s_add_u32 s28, s34, 8
	v_pk_mov_b32 v[4:5], s[30:31], s[30:31] op_sel:[0,1]
	s_mov_b32 s30, 0
	s_mov_b32 s17, 0
	s_addc_u32 s29, s35, 0
	s_waitcnt lgkmcnt(0)
	v_pk_mov_b32 v[2:3], s[36:37], s[36:37] op_sel:[0,1]
	s_brev_b32 s31, 8
	v_mov_b32_e32 v1, 0x260
	v_mov_b32_e32 v10, 0
	s_mov_b64 s[34:35], s[26:27]
	s_mov_b32 s10, 0
	s_branch .LBB19_9
.LBB19_8:                               ;   in Loop: Header=BB19_9 Depth=1
	s_add_i32 s10, s10, 1
	s_add_u32 s34, s34, 8
	s_addc_u32 s35, s35, 0
	s_add_u32 s12, s12, 8
	s_addc_u32 s13, s13, 0
	;; [unrolled: 2-line block ×3, first 2 shown]
	s_cmp_lg_u32 s14, s10
	s_waitcnt vmcnt(0)
	v_mul_f64 v[4:5], v[6:7], v[4:5]
	s_cbranch_scc0 .LBB19_21
.LBB19_9:                               ; =>This Inner Loop Header: Depth=1
	v_cmp_eq_f64_e32 vcc, 0, v[2:3]
	v_pk_mov_b32 v[8:9], 0, 0
	s_cbranch_vccnz .LBB19_13
; %bb.10:                               ;   in Loop: Header=BB19_9 Depth=1
	v_cmp_neq_f64_e32 vcc, 0, v[4:5]
	s_cbranch_vccz .LBB19_14
; %bb.11:                               ;   in Loop: Header=BB19_9 Depth=1
	v_cmp_ngt_f64_e64 s[36:37], |v[2:3]|, |v[4:5]|
	s_and_b64 vcc, exec, s[36:37]
	s_cbranch_vccz .LBB19_15
; %bb.12:                               ;   in Loop: Header=BB19_9 Depth=1
	v_div_scale_f64 v[6:7], s[36:37], v[4:5], v[4:5], -v[2:3]
	v_rcp_f64_e32 v[8:9], v[6:7]
	v_div_scale_f64 v[12:13], vcc, -v[2:3], v[4:5], -v[2:3]
	v_fma_f64 v[14:15], -v[6:7], v[8:9], 1.0
	v_fmac_f64_e32 v[8:9], v[8:9], v[14:15]
	v_fma_f64 v[14:15], -v[6:7], v[8:9], 1.0
	v_fmac_f64_e32 v[8:9], v[8:9], v[14:15]
	v_mul_f64 v[14:15], v[12:13], v[8:9]
	v_fma_f64 v[6:7], -v[6:7], v[14:15], v[12:13]
	v_div_fmas_f64 v[6:7], v[6:7], v[8:9], v[14:15]
	v_div_fixup_f64 v[8:9], v[6:7], v[4:5], -v[2:3]
	v_fma_f64 v[6:7], v[8:9], v[8:9], 1.0
	v_cmp_gt_f64_e32 vcc, s[30:31], v[6:7]
	v_cndmask_b32_e64 v11, 0, 1, vcc
	v_lshlrev_b32_e32 v11, 8, v11
	v_ldexp_f64 v[6:7], v[6:7], v11
	v_rsq_f64_e32 v[12:13], v[6:7]
	s_and_b64 s[36:37], vcc, exec
	s_cselect_b32 s15, 0xffffff80, 0
	v_cmp_class_f64_e32 vcc, v[6:7], v1
	v_mul_f64 v[14:15], v[6:7], v[12:13]
	v_mul_f64 v[12:13], v[12:13], 0.5
	v_fma_f64 v[16:17], -v[12:13], v[14:15], 0.5
	v_fmac_f64_e32 v[14:15], v[14:15], v[16:17]
	v_fma_f64 v[18:19], -v[14:15], v[14:15], v[6:7]
	v_fmac_f64_e32 v[12:13], v[12:13], v[16:17]
	v_fmac_f64_e32 v[14:15], v[18:19], v[12:13]
	v_fma_f64 v[16:17], -v[14:15], v[14:15], v[6:7]
	v_fmac_f64_e32 v[14:15], v[16:17], v[12:13]
	v_ldexp_f64 v[12:13], v[14:15], s15
	v_cndmask_b32_e32 v7, v13, v7, vcc
	v_cndmask_b32_e32 v6, v12, v6, vcc
	v_div_scale_f64 v[12:13], s[36:37], v[6:7], v[6:7], 1.0
	v_rcp_f64_e32 v[14:15], v[12:13]
	v_fma_f64 v[16:17], -v[12:13], v[14:15], 1.0
	v_fmac_f64_e32 v[14:15], v[14:15], v[16:17]
	v_fma_f64 v[16:17], -v[12:13], v[14:15], 1.0
	v_fmac_f64_e32 v[14:15], v[14:15], v[16:17]
	v_div_scale_f64 v[16:17], vcc, 1.0, v[6:7], 1.0
	v_mul_f64 v[18:19], v[16:17], v[14:15]
	v_fma_f64 v[12:13], -v[12:13], v[18:19], v[16:17]
	s_nop 1
	v_div_fmas_f64 v[12:13], v[12:13], v[14:15], v[18:19]
	v_div_fixup_f64 v[6:7], v[12:13], v[6:7], 1.0
	v_mul_f64 v[8:9], v[8:9], v[6:7]
	s_cbranch_execz .LBB19_16
	s_branch .LBB19_17
.LBB19_13:                              ;   in Loop: Header=BB19_9 Depth=1
	v_mov_b32_e32 v6, 0
	v_mov_b32_e32 v7, 0x3ff00000
	s_branch .LBB19_19
.LBB19_14:                              ;   in Loop: Header=BB19_9 Depth=1
                                        ; implicit-def: $vgpr4_vgpr5
                                        ; implicit-def: $vgpr8_vgpr9
                                        ; implicit-def: $vgpr6_vgpr7
	s_cbranch_execnz .LBB19_18
	s_branch .LBB19_19
.LBB19_15:                              ;   in Loop: Header=BB19_9 Depth=1
                                        ; implicit-def: $vgpr8_vgpr9
                                        ; implicit-def: $vgpr6_vgpr7
.LBB19_16:                              ;   in Loop: Header=BB19_9 Depth=1
	v_div_scale_f64 v[6:7], s[36:37], v[2:3], v[2:3], -v[4:5]
	v_rcp_f64_e32 v[8:9], v[6:7]
	v_div_scale_f64 v[12:13], vcc, -v[4:5], v[2:3], -v[4:5]
	v_fma_f64 v[14:15], -v[6:7], v[8:9], 1.0
	v_fmac_f64_e32 v[8:9], v[8:9], v[14:15]
	v_fma_f64 v[14:15], -v[6:7], v[8:9], 1.0
	v_fmac_f64_e32 v[8:9], v[8:9], v[14:15]
	v_mul_f64 v[14:15], v[12:13], v[8:9]
	v_fma_f64 v[6:7], -v[6:7], v[14:15], v[12:13]
	v_div_fmas_f64 v[6:7], v[6:7], v[8:9], v[14:15]
	v_div_fixup_f64 v[6:7], v[6:7], v[2:3], -v[4:5]
	v_fma_f64 v[8:9], v[6:7], v[6:7], 1.0
	v_cmp_gt_f64_e32 vcc, s[30:31], v[8:9]
	v_cndmask_b32_e64 v11, 0, 1, vcc
	v_lshlrev_b32_e32 v11, 8, v11
	v_ldexp_f64 v[8:9], v[8:9], v11
	v_rsq_f64_e32 v[12:13], v[8:9]
	s_and_b64 s[36:37], vcc, exec
	s_cselect_b32 s15, 0xffffff80, 0
	v_cmp_class_f64_e32 vcc, v[8:9], v1
	v_mul_f64 v[14:15], v[8:9], v[12:13]
	v_mul_f64 v[12:13], v[12:13], 0.5
	v_fma_f64 v[16:17], -v[12:13], v[14:15], 0.5
	v_fmac_f64_e32 v[14:15], v[14:15], v[16:17]
	v_fma_f64 v[18:19], -v[14:15], v[14:15], v[8:9]
	v_fmac_f64_e32 v[12:13], v[12:13], v[16:17]
	v_fmac_f64_e32 v[14:15], v[18:19], v[12:13]
	v_fma_f64 v[16:17], -v[14:15], v[14:15], v[8:9]
	v_fmac_f64_e32 v[14:15], v[16:17], v[12:13]
	v_ldexp_f64 v[12:13], v[14:15], s15
	v_cndmask_b32_e32 v9, v13, v9, vcc
	v_cndmask_b32_e32 v8, v12, v8, vcc
	v_div_scale_f64 v[12:13], s[36:37], v[8:9], v[8:9], 1.0
	v_rcp_f64_e32 v[14:15], v[12:13]
	v_fma_f64 v[16:17], -v[12:13], v[14:15], 1.0
	v_fmac_f64_e32 v[14:15], v[14:15], v[16:17]
	v_fma_f64 v[16:17], -v[12:13], v[14:15], 1.0
	v_fmac_f64_e32 v[14:15], v[14:15], v[16:17]
	v_div_scale_f64 v[16:17], vcc, 1.0, v[8:9], 1.0
	v_mul_f64 v[18:19], v[16:17], v[14:15]
	v_fma_f64 v[12:13], -v[12:13], v[18:19], v[16:17]
	s_nop 1
	v_div_fmas_f64 v[12:13], v[12:13], v[14:15], v[18:19]
	v_div_fixup_f64 v[8:9], v[12:13], v[8:9], 1.0
	v_mul_f64 v[6:7], v[6:7], v[8:9]
.LBB19_17:                              ;   in Loop: Header=BB19_9 Depth=1
	v_mul_f64 v[12:13], v[2:3], v[8:9]
	v_fma_f64 v[4:5], v[4:5], v[6:7], -v[12:13]
	s_branch .LBB19_19
.LBB19_18:                              ;   in Loop: Header=BB19_9 Depth=1
	v_xor_b32_e32 v3, 0x80000000, v3
	v_mov_b32_e32 v8, 0
	v_pk_mov_b32 v[6:7], 0, 0
	v_mov_b32_e32 v9, 0x3ff00000
	v_pk_mov_b32 v[4:5], v[2:3], v[2:3] op_sel:[0,1]
.LBB19_19:                              ;   in Loop: Header=BB19_9 Depth=1
	global_load_dwordx2 v[12:13], v10, s[12:13]
	s_andn2_b64 vcc, exec, s[18:19]
	global_store_dwordx2 v10, v[4:5], s[12:13] offset:-8
	global_load_dwordx2 v[2:3], v10, s[28:29]
	s_waitcnt vmcnt(2)
	v_mul_f64 v[4:5], v[12:13], -v[8:9]
	global_store_dwordx2 v10, v[4:5], s[28:29] offset:-8
	global_load_dwordx2 v[4:5], v10, s[12:13]
	s_cbranch_vccnz .LBB19_8
; %bb.20:                               ;   in Loop: Header=BB19_9 Depth=1
	s_add_i32 s16, s20, s10
	s_lshl_b64 s[36:37], s[16:17], 3
	s_add_u32 s36, s26, s36
	s_addc_u32 s37, s27, s37
	global_store_dwordx2 v10, v[6:7], s[34:35]
	global_store_dwordx2 v10, v[8:9], s[36:37]
	s_branch .LBB19_8
.LBB19_21:
	s_ashr_i32 s15, s14, 31
	s_lshl_b64 s[12:13], s[14:15], 3
	s_add_u32 s2, s2, s12
	s_addc_u32 s3, s3, s13
	v_mov_b32_e32 v1, 0
	global_store_dwordx2 v1, v[4:5], s[2:3]
.LBB19_22:
	s_or_b64 exec, exec, s[0:1]
	v_cmp_gt_i32_e32 vcc, s21, v0
	s_barrier
	s_and_saveexec_b64 s[2:3], vcc
	s_cbranch_execz .LBB19_28
; %bb.23:
	s_load_dword s10, s[4:5], 0x8c
	s_add_i32 s28, s20, -1
	s_cmp_gt_i32 s20, 1
	s_cselect_b64 s[0:1], -1, 0
	s_mul_i32 s18, s28, s11
	s_waitcnt lgkmcnt(0)
	s_and_b32 s29, s10, 0xffff
	s_add_u32 s12, s8, 32
	s_addc_u32 s13, s23, 0
	s_ashr_i32 s19, s18, 31
	s_ashr_i32 s15, s11, 31
	s_mov_b32 s14, s11
	s_lshl_b64 s[10:11], s[14:15], 3
	s_mov_b32 s15, 0
	s_mov_b32 s14, s20
	v_cndmask_b32_e64 v2, 0, 1, s[0:1]
	s_lshl_b64 s[18:19], s[18:19], 3
	s_lshl_b64 s[14:15], s[14:15], 3
	s_mov_b64 s[16:17], 0
	v_mov_b32_e32 v1, s25
	v_cmp_ne_u32_e64 s[0:1], 1, v2
	v_mov_b32_e32 v10, 0
	v_mov_b32_e32 v11, s19
	;; [unrolled: 1-line block ×3, first 2 shown]
	s_branch .LBB19_25
.LBB19_24:                              ;   in Loop: Header=BB19_25 Depth=1
	v_add_co_u32_e32 v6, vcc, s18, v6
	v_addc_co_u32_e32 v7, vcc, v7, v11, vcc
	v_add_u32_e32 v2, s29, v2
	v_cmp_le_i32_e32 vcc, s21, v2
	s_or_b64 s[16:17], vcc, s[16:17]
	s_waitcnt vmcnt(0) lgkmcnt(0)
	flat_store_dwordx2 v[6:7], v[4:5]
	s_andn2_b64 exec, exec, s[16:17]
	s_cbranch_execz .LBB19_28
.LBB19_25:                              ; =>This Loop Header: Depth=1
                                        ;     Child Loop BB19_27 Depth 2
	v_ashrrev_i32_e32 v3, 31, v2
	v_lshlrev_b64 v[4:5], 3, v[2:3]
	v_add_co_u32_e32 v6, vcc, s24, v4
	v_addc_co_u32_e32 v7, vcc, v1, v5, vcc
	flat_load_dwordx2 v[4:5], v[6:7]
	s_and_b64 vcc, exec, s[0:1]
	s_cbranch_vccnz .LBB19_24
; %bb.26:                               ;   in Loop: Header=BB19_25 Depth=1
	s_mov_b32 s19, s28
	s_mov_b64 s[26:27], s[12:13]
	v_pk_mov_b32 v[8:9], v[6:7], v[6:7] op_sel:[0,1]
.LBB19_27:                              ;   Parent Loop BB19_25 Depth=1
                                        ; =>  This Inner Loop Header: Depth=2
	v_mov_b32_e32 v3, s11
	v_add_co_u32_e32 v12, vcc, s10, v8
	v_addc_co_u32_e32 v13, vcc, v9, v3, vcc
	s_add_u32 s30, s26, s14
	flat_load_dwordx2 v[14:15], v[12:13]
	s_addc_u32 s31, s27, s15
	global_load_dwordx2 v[16:17], v10, s[30:31]
	global_load_dwordx2 v[18:19], v10, s[26:27]
	s_add_u32 s26, s26, 8
	s_addc_u32 s27, s27, 0
	s_add_i32 s19, s19, -1
	s_cmp_lg_u32 s19, 0
	s_waitcnt vmcnt(0) lgkmcnt(0)
	v_mul_f64 v[20:21], v[14:15], v[16:17]
	v_fma_f64 v[20:21], v[4:5], v[18:19], -v[20:21]
	v_mul_f64 v[4:5], v[4:5], v[16:17]
	flat_store_dwordx2 v[8:9], v[20:21]
	v_fmac_f64_e32 v[4:5], v[14:15], v[18:19]
	v_pk_mov_b32 v[8:9], v[12:13], v[12:13] op_sel:[0,1]
	s_cbranch_scc1 .LBB19_27
	s_branch .LBB19_24
.LBB19_28:
	s_or_b64 exec, exec, s[2:3]
	v_cmp_gt_i32_e32 vcc, s22, v0
	s_and_saveexec_b64 s[0:1], vcc
	s_cbranch_execz .LBB19_34
; %bb.29:
	s_load_dword s3, s[4:5], 0x8c
	s_add_i32 s2, s20, -1
	s_cmp_gt_i32 s20, 1
	s_cselect_b64 s[0:1], -1, 0
	s_mov_b32 s21, 0
	s_waitcnt lgkmcnt(0)
	s_and_b32 s18, s3, 0xffff
	s_add_u32 s4, s8, 32
	s_addc_u32 s5, s23, 0
	s_ashr_i32 s3, s2, 31
	v_cndmask_b32_e64 v3, 0, 1, s[0:1]
	s_lshl_b64 s[14:15], s[2:3], 3
	v_mul_lo_u32 v2, v0, s9
	s_mul_i32 s8, s9, s18
	s_lshl_b64 s[10:11], s[20:21], 3
	s_mov_b64 s[12:13], 0
	v_mov_b32_e32 v1, s7
	v_cmp_ne_u32_e64 s[0:1], 1, v3
	v_mov_b32_e32 v10, 0
	v_mov_b32_e32 v11, s15
	s_branch .LBB19_31
.LBB19_30:                              ;   in Loop: Header=BB19_31 Depth=1
	v_add_co_u32_e32 v4, vcc, s14, v4
	v_addc_co_u32_e32 v5, vcc, v5, v11, vcc
	v_add_u32_e32 v0, s18, v0
	v_cmp_le_i32_e32 vcc, s22, v0
	s_or_b64 s[12:13], vcc, s[12:13]
	v_add_u32_e32 v2, s8, v2
	s_waitcnt vmcnt(0) lgkmcnt(0)
	flat_store_dwordx2 v[4:5], v[6:7]
	s_andn2_b64 exec, exec, s[12:13]
	s_cbranch_execz .LBB19_34
.LBB19_31:                              ; =>This Loop Header: Depth=1
                                        ;     Child Loop BB19_33 Depth 2
	v_mul_lo_u32 v4, v0, s9
	v_ashrrev_i32_e32 v5, 31, v4
	v_lshlrev_b64 v[4:5], 3, v[4:5]
	v_add_co_u32_e32 v4, vcc, s6, v4
	v_addc_co_u32_e32 v5, vcc, v1, v5, vcc
	flat_load_dwordx2 v[6:7], v[4:5]
	s_and_b64 vcc, exec, s[0:1]
	s_cbranch_vccnz .LBB19_30
; %bb.32:                               ;   in Loop: Header=BB19_31 Depth=1
	v_ashrrev_i32_e32 v3, 31, v2
	v_lshlrev_b64 v[8:9], 3, v[2:3]
	v_add_co_u32_e32 v8, vcc, s6, v8
	v_addc_co_u32_e32 v9, vcc, v1, v9, vcc
	s_mov_b32 s3, s2
	s_mov_b64 s[16:17], s[4:5]
.LBB19_33:                              ;   Parent Loop BB19_31 Depth=1
                                        ; =>  This Inner Loop Header: Depth=2
	s_add_u32 s20, s16, s10
	s_addc_u32 s21, s17, s11
	flat_load_dwordx2 v[12:13], v[8:9] offset:8
	global_load_dwordx2 v[14:15], v10, s[16:17]
	global_load_dwordx2 v[16:17], v10, s[20:21]
	v_add_co_u32_e32 v18, vcc, 8, v8
	s_add_u32 s16, s16, 8
	v_addc_co_u32_e32 v19, vcc, 0, v9, vcc
	s_addc_u32 s17, s17, 0
	s_add_i32 s3, s3, -1
	s_cmp_lg_u32 s3, 0
	s_waitcnt vmcnt(0) lgkmcnt(0)
	v_mul_f64 v[20:21], v[12:13], v[16:17]
	v_fma_f64 v[20:21], v[6:7], v[14:15], -v[20:21]
	v_mul_f64 v[6:7], v[6:7], v[16:17]
	flat_store_dwordx2 v[8:9], v[20:21]
	v_fmac_f64_e32 v[6:7], v[12:13], v[14:15]
	v_pk_mov_b32 v[8:9], v[18:19], v[18:19] op_sel:[0,1]
	s_cbranch_scc1 .LBB19_33
	s_branch .LBB19_30
.LBB19_34:
	s_endpgm
	.section	.rodata,"a",@progbits
	.p2align	6, 0x0
	.amdhsa_kernel _ZN9rocsolver6v33100L17bdsqr_lower2upperIddPdS2_EEviiiPT0_lS4_lT1_iilT2_iilPiS4_lS7_
		.amdhsa_group_segment_fixed_size 0
		.amdhsa_private_segment_fixed_size 0
		.amdhsa_kernarg_size 384
		.amdhsa_user_sgpr_count 6
		.amdhsa_user_sgpr_private_segment_buffer 1
		.amdhsa_user_sgpr_dispatch_ptr 0
		.amdhsa_user_sgpr_queue_ptr 0
		.amdhsa_user_sgpr_kernarg_segment_ptr 1
		.amdhsa_user_sgpr_dispatch_id 0
		.amdhsa_user_sgpr_flat_scratch_init 0
		.amdhsa_user_sgpr_kernarg_preload_length 0
		.amdhsa_user_sgpr_kernarg_preload_offset 0
		.amdhsa_user_sgpr_private_segment_size 0
		.amdhsa_uses_dynamic_stack 0
		.amdhsa_system_sgpr_private_segment_wavefront_offset 0
		.amdhsa_system_sgpr_workgroup_id_x 1
		.amdhsa_system_sgpr_workgroup_id_y 1
		.amdhsa_system_sgpr_workgroup_id_z 0
		.amdhsa_system_sgpr_workgroup_info 0
		.amdhsa_system_vgpr_workitem_id 0
		.amdhsa_next_free_vgpr 22
		.amdhsa_next_free_sgpr 38
		.amdhsa_accum_offset 24
		.amdhsa_reserve_vcc 1
		.amdhsa_reserve_flat_scratch 0
		.amdhsa_float_round_mode_32 0
		.amdhsa_float_round_mode_16_64 0
		.amdhsa_float_denorm_mode_32 3
		.amdhsa_float_denorm_mode_16_64 3
		.amdhsa_dx10_clamp 1
		.amdhsa_ieee_mode 1
		.amdhsa_fp16_overflow 0
		.amdhsa_tg_split 0
		.amdhsa_exception_fp_ieee_invalid_op 0
		.amdhsa_exception_fp_denorm_src 0
		.amdhsa_exception_fp_ieee_div_zero 0
		.amdhsa_exception_fp_ieee_overflow 0
		.amdhsa_exception_fp_ieee_underflow 0
		.amdhsa_exception_fp_ieee_inexact 0
		.amdhsa_exception_int_div_zero 0
	.end_amdhsa_kernel
	.section	.text._ZN9rocsolver6v33100L17bdsqr_lower2upperIddPdS2_EEviiiPT0_lS4_lT1_iilT2_iilPiS4_lS7_,"axG",@progbits,_ZN9rocsolver6v33100L17bdsqr_lower2upperIddPdS2_EEviiiPT0_lS4_lT1_iilT2_iilPiS4_lS7_,comdat
.Lfunc_end19:
	.size	_ZN9rocsolver6v33100L17bdsqr_lower2upperIddPdS2_EEviiiPT0_lS4_lT1_iilT2_iilPiS4_lS7_, .Lfunc_end19-_ZN9rocsolver6v33100L17bdsqr_lower2upperIddPdS2_EEviiiPT0_lS4_lT1_iilT2_iilPiS4_lS7_
                                        ; -- End function
	.section	.AMDGPU.csdata,"",@progbits
; Kernel info:
; codeLenInByte = 2088
; NumSgprs: 42
; NumVgprs: 22
; NumAgprs: 0
; TotalNumVgprs: 22
; ScratchSize: 0
; MemoryBound: 0
; FloatMode: 240
; IeeeMode: 1
; LDSByteSize: 0 bytes/workgroup (compile time only)
; SGPRBlocks: 5
; VGPRBlocks: 2
; NumSGPRsForWavesPerEU: 42
; NumVGPRsForWavesPerEU: 22
; AccumOffset: 24
; Occupancy: 8
; WaveLimiterHint : 0
; COMPUTE_PGM_RSRC2:SCRATCH_EN: 0
; COMPUTE_PGM_RSRC2:USER_SGPR: 6
; COMPUTE_PGM_RSRC2:TRAP_HANDLER: 0
; COMPUTE_PGM_RSRC2:TGID_X_EN: 1
; COMPUTE_PGM_RSRC2:TGID_Y_EN: 1
; COMPUTE_PGM_RSRC2:TGID_Z_EN: 0
; COMPUTE_PGM_RSRC2:TIDIG_COMP_CNT: 0
; COMPUTE_PGM_RSRC3_GFX90A:ACCUM_OFFSET: 5
; COMPUTE_PGM_RSRC3_GFX90A:TG_SPLIT: 0
	.section	.text._ZN9rocsolver6v33100L13bdsqr_computeILi256EddPdS2_S2_EEviiiiPT1_lS4_lT2_iilT3_iilT4_iiliS3_S3_S3_S3_PiS4_ilS8_,"axG",@progbits,_ZN9rocsolver6v33100L13bdsqr_computeILi256EddPdS2_S2_EEviiiiPT1_lS4_lT2_iilT3_iilT4_iiliS3_S3_S3_S3_PiS4_ilS8_,comdat
	.globl	_ZN9rocsolver6v33100L13bdsqr_computeILi256EddPdS2_S2_EEviiiiPT1_lS4_lT2_iilT3_iilT4_iiliS3_S3_S3_S3_PiS4_ilS8_ ; -- Begin function _ZN9rocsolver6v33100L13bdsqr_computeILi256EddPdS2_S2_EEviiiiPT1_lS4_lT2_iilT3_iilT4_iiliS3_S3_S3_S3_PiS4_ilS8_
	.p2align	8
	.type	_ZN9rocsolver6v33100L13bdsqr_computeILi256EddPdS2_S2_EEviiiiPT1_lS4_lT2_iilT3_iilT4_iiliS3_S3_S3_S3_PiS4_ilS8_,@function
_ZN9rocsolver6v33100L13bdsqr_computeILi256EddPdS2_S2_EEviiiiPT1_lS4_lT2_iilT3_iilT4_iiliS3_S3_S3_S3_PiS4_ilS8_: ; @_ZN9rocsolver6v33100L13bdsqr_computeILi256EddPdS2_S2_EEviiiiPT1_lS4_lT2_iilT3_iilT4_iiliS3_S3_S3_S3_PiS4_ilS8_
; %bb.0:
	s_load_dwordx4 s[0:3], s[4:5], 0xb8
	s_ashr_i32 s9, s8, 31
	s_lshl_b64 s[10:11], s[8:9], 2
	s_waitcnt lgkmcnt(0)
	s_add_u32 s2, s2, s10
	s_addc_u32 s3, s3, s11
	s_load_dword s2, s[2:3], 0x8
	s_waitcnt lgkmcnt(0)
	s_cmp_lg_u32 s2, 0
	s_cbranch_scc1 .LBB20_181
; %bb.1:
	s_load_dwordx8 s[20:27], s[4:5], 0x30
	s_mov_b64 s[34:35], 0
	s_mov_b64 s[48:49], 0
	s_waitcnt lgkmcnt(0)
	s_cmp_eq_u64 s[20:21], 0
	s_cbranch_scc1 .LBB20_3
; %bb.2:
	s_mul_i32 s6, s8, s25
	s_mul_hi_u32 s10, s8, s24
	s_add_i32 s6, s10, s6
	s_mul_i32 s10, s9, s24
	s_add_i32 s11, s6, s10
	s_mul_i32 s10, s8, s24
	s_ashr_i32 s3, s22, 31
	s_lshl_b64 s[10:11], s[10:11], 3
	s_mov_b32 s2, s22
	s_add_u32 s6, s20, s10
	s_addc_u32 s10, s21, s11
	s_lshl_b64 s[2:3], s[2:3], 3
	s_add_u32 s48, s6, s2
	s_addc_u32 s49, s10, s3
.LBB20_3:
	s_load_dwordx2 s[74:75], s[4:5], 0x50
	s_load_dwordx4 s[12:15], s[4:5], 0x58
	s_cmp_eq_u64 s[26:27], 0
	s_cbranch_scc1 .LBB20_5
; %bb.4:
	s_waitcnt lgkmcnt(0)
	s_mul_i32 s6, s8, s13
	s_mul_hi_u32 s10, s8, s12
	s_add_i32 s6, s10, s6
	s_mul_i32 s10, s9, s12
	s_add_i32 s11, s6, s10
	s_mul_i32 s10, s8, s12
	s_ashr_i32 s3, s74, 31
	s_lshl_b64 s[10:11], s[10:11], 3
	s_mov_b32 s2, s74
	s_add_u32 s6, s26, s10
	s_addc_u32 s10, s27, s11
	s_lshl_b64 s[2:3], s[2:3], 3
	s_add_u32 s34, s6, s2
	s_addc_u32 s35, s10, s3
.LBB20_5:
	s_load_dwordx2 s[50:51], s[4:5], 0x68
	s_waitcnt lgkmcnt(0)
	s_cmp_eq_u64 s[14:15], 0
	s_mov_b64 s[52:53], 0
	s_cbranch_scc1 .LBB20_7
; %bb.6:
	s_load_dwordx2 s[2:3], s[4:5], 0x70
	s_ashr_i32 s11, s50, 31
	s_mov_b32 s10, s50
	s_waitcnt lgkmcnt(0)
	s_mul_i32 s3, s8, s3
	s_mul_hi_u32 s6, s8, s2
	s_mul_i32 s12, s9, s2
	s_add_i32 s3, s6, s3
	s_add_i32 s3, s3, s12
	s_mul_i32 s2, s8, s2
	s_lshl_b64 s[2:3], s[2:3], 3
	s_add_u32 s6, s14, s2
	s_addc_u32 s12, s15, s3
	s_lshl_b64 s[2:3], s[10:11], 3
	s_add_u32 s52, s6, s2
	s_addc_u32 s53, s12, s3
.LBB20_7:
	s_load_dwordx8 s[24:31], s[4:5], 0x90
	s_mul_i32 s1, s8, s1
	s_mul_hi_u32 s2, s8, s0
	s_add_i32 s1, s2, s1
	s_mul_i32 s2, s9, s0
	s_add_i32 s1, s1, s2
	s_mul_i32 s0, s8, s0
	s_lshl_b64 s[10:11], s[0:1], 3
	s_waitcnt lgkmcnt(0)
	s_add_u32 s54, s30, s10
	s_addc_u32 s55, s31, s11
	s_load_dwordx2 s[0:1], s[54:55], 0x10
	s_waitcnt lgkmcnt(0)
	v_cvt_i32_f64_e32 v1, s[0:1]
	v_cmp_ge_i32_e32 vcc, s7, v1
	s_cbranch_vccnz .LBB20_181
; %bb.8:
	s_load_dwordx4 s[44:47], s[4:5], 0x0
	s_load_dwordx8 s[36:43], s[4:5], 0x10
                                        ; implicit-def: $vgpr36 : SGPR spill to VGPR lane
	v_lshlrev_b32_e32 v16, 3, v0
	v_mul_lo_u32 v21, v0, s23
	v_mul_lo_u32 v23, v0, s51
	s_waitcnt lgkmcnt(0)
	s_mul_i32 s0, s8, s44
	s_lshl_b32 s0, s0, 1
	s_ashr_i32 s1, s0, 31
	s_lshl_b64 s[0:1], s[0:1], 2
	s_mul_i32 s2, s8, s39
	s_mul_hi_u32 s3, s8, s38
	s_add_u32 s6, s28, s0
	s_addc_u32 s20, s29, s1
	s_add_i32 s0, s3, s2
	s_mul_i32 s1, s9, s38
	s_add_i32 s1, s0, s1
	s_mul_i32 s0, s8, s38
	s_lshl_b64 s[0:1], s[0:1], 3
	s_add_u32 s22, s36, s0
	s_addc_u32 s33, s37, s1
	s_mul_i32 s0, s8, s43
	s_mul_hi_u32 s1, s8, s42
	s_add_i32 s0, s1, s0
	s_mul_i32 s1, s9, s42
	s_add_i32 s1, s0, s1
	s_mul_i32 s0, s8, s42
	v_writelane_b32 v36, s0, 0
	s_lshl_b64 s[12:13], s[0:1], 3
	s_add_u32 s44, s40, s12
	s_addc_u32 s50, s41, s13
	s_cmp_lg_u32 s45, 0
	s_cselect_b64 s[36:37], -1, 0
	s_or_b32 s8, s47, s46
	s_cmp_eq_u32 s8, 0
	v_writelane_b32 v36, s1, 1
	s_cselect_b64 s[8:9], -1, 0
	v_writelane_b32 v36, s8, 2
	s_cmp_lg_u64 s[48:49], 0
	v_writelane_b32 v36, s9, 3
	s_cselect_b64 s[8:9], -1, 0
	s_and_b64 s[82:83], s[36:37], s[8:9]
	s_add_u32 s92, s4, 0xc8
	s_addc_u32 s93, s5, 0
	s_cmp_lg_u64 s[34:35], 0
	s_cselect_b64 s[8:9], -1, 0
	s_cmp_lg_u32 s46, 0
	s_cselect_b64 s[14:15], -1, 0
	s_and_b64 s[94:95], s[14:15], s[8:9]
	v_cmp_gt_i32_e64 s[8:9], s46, v0
	v_writelane_b32 v36, s8, 4
	s_cmp_lg_u64 s[52:53], 0
	v_writelane_b32 v36, s9, 5
	s_cselect_b64 s[8:9], -1, 0
	s_cmp_lg_u32 s47, 0
	s_cselect_b64 s[14:15], -1, 0
	s_and_b64 s[8:9], s[14:15], s[8:9]
	s_add_u32 s18, s30, s10
	v_writelane_b32 v36, s8, 6
	s_addc_u32 s19, s31, s11
	v_writelane_b32 v36, s9, 7
	s_add_u32 s8, s18, 24
	v_writelane_b32 v36, s8, 8
	s_addc_u32 s8, s19, 0
	v_writelane_b32 v36, s8, 9
	v_cmp_gt_i32_e64 s[8:9], s47, v0
	v_writelane_b32 v36, s8, 10
	v_writelane_b32 v36, s9, 11
	s_load_dword s8, s[4:5], 0x78
	s_load_dwordx2 s[14:15], s[4:5], 0x80
	s_add_u32 s10, s40, -8
	s_addc_u32 s11, s41, -1
	s_load_dword s79, s[4:5], 0xb0
	s_load_dword s9, s[4:5], 0xcc
	s_add_u32 s4, s10, s12
	s_waitcnt lgkmcnt(0)
	v_writelane_b32 v36, s14, 12
	v_writelane_b32 v36, s15, 13
	;; [unrolled: 1-line block ×5, first 2 shown]
	s_addc_u32 s4, s11, s13
	v_mov_b32_e32 v3, s33
	v_add_co_u32_e32 v17, vcc, s22, v16
	v_writelane_b32 v36, s4, 17
	s_add_u32 s4, s22, -8
	v_addc_co_u32_e32 v18, vcc, 0, v3, vcc
	v_writelane_b32 v36, s4, 18
	s_addc_u32 s4, s33, -1
	s_movk_i32 s0, 0x80
	v_mov_b32_e32 v3, s50
	v_add_co_u32_e32 v19, vcc, s44, v16
	v_writelane_b32 v36, s4, 19
	s_add_u32 s4, s18, 40
	s_mov_b32 s40, 0
	v_cmp_gt_u32_e64 s[0:1], s0, v0
	v_cmp_gt_u32_e64 s[2:3], 64, v0
	v_cmp_eq_u32_e64 s[16:17], 0, v0
	v_cmp_gt_i32_e64 s[90:91], s45, v0
	v_mov_b32_e32 v2, 0
	v_addc_co_u32_e32 v20, vcc, 0, v3, vcc
	v_writelane_b32 v36, s4, 20
	v_add_u32_e32 v22, -1, v21
	v_add_u32_e32 v24, -1, v23
	v_mov_b32_e32 v25, 0x260
	v_mov_b32_e32 v26, 1
	s_addc_u32 s4, s19, 0
	s_brev_b32 s41, 8
	v_writelane_b32 v36, s4, 21
	s_branch .LBB20_11
.LBB20_9:                               ;   in Loop: Header=BB20_11 Depth=1
	s_or_b64 exec, exec, s[12:13]
.LBB20_10:                              ;   in Loop: Header=BB20_11 Depth=1
	s_add_i32 s7, s9, s7
	v_cmp_lt_i32_e32 vcc, s7, v1
	s_cbranch_vccz .LBB20_181
.LBB20_11:                              ; =>This Loop Header: Depth=1
                                        ;     Child Loop BB20_15 Depth 2
                                        ;     Child Loop BB20_40 Depth 2
	;; [unrolled: 1-line block ×5, first 2 shown]
                                        ;       Child Loop BB20_164 Depth 3
                                        ;     Child Loop BB20_170 Depth 2
                                        ;       Child Loop BB20_172 Depth 3
                                        ;     Child Loop BB20_178 Depth 2
                                        ;       Child Loop BB20_180 Depth 3
	s_lshl_b32 s4, s7, 2
	s_ashr_i32 s5, s4, 31
	s_lshl_b64 s[4:5], s[4:5], 2
	s_add_u32 s12, s6, s4
	s_addc_u32 s13, s20, s5
	global_load_dwordx2 v[4:5], v2, s[12:13] offset:4
	s_waitcnt vmcnt(0)
	v_readfirstlane_b32 s66, v4
	v_readfirstlane_b32 s64, v5
	s_cmp_le_i32 s64, s66
	s_cbranch_scc1 .LBB20_10
; %bb.12:                               ;   in Loop: Header=BB20_11 Depth=1
	global_load_dword v3, v2, s[12:13] offset:12
	s_waitcnt vmcnt(0)
	v_cmp_le_i32_e32 vcc, s8, v3
	s_cbranch_vccnz .LBB20_10
; %bb.13:                               ;   in Loop: Header=BB20_11 Depth=1
	s_sub_i32 s62, s64, s66
	s_ashr_i32 s67, s66, 31
	v_cmp_ge_i32_e32 vcc, s62, v0
	v_pk_mov_b32 v[4:5], 0, 0
	s_and_saveexec_b64 s[4:5], vcc
	s_cbranch_execz .LBB20_17
; %bb.14:                               ;   in Loop: Header=BB20_11 Depth=1
	s_lshl_b64 s[10:11], s[66:67], 3
	v_mov_b32_e32 v3, s11
	v_add_co_u32_e32 v6, vcc, s10, v17
	v_addc_co_u32_e32 v7, vcc, v18, v3, vcc
	s_mov_b64 s[14:15], 0
	v_pk_mov_b32 v[4:5], 0, 0
	v_mov_b32_e32 v3, v0
.LBB20_15:                              ;   Parent Loop BB20_11 Depth=1
                                        ; =>  This Inner Loop Header: Depth=2
	global_load_dwordx2 v[8:9], v[6:7], off
	v_add_co_u32_e32 v6, vcc, 0x800, v6
	v_add_u32_e32 v3, 0x100, v3
	v_addc_co_u32_e32 v7, vcc, 0, v7, vcc
	v_cmp_lt_i32_e32 vcc, s62, v3
	s_or_b64 s[14:15], vcc, s[14:15]
	s_waitcnt vmcnt(0)
	v_and_b32_e32 v10, 0x7fffffff, v9
	v_cmp_lt_f64_e64 vcc, v[4:5], |v[8:9]|
	v_cndmask_b32_e32 v5, v5, v10, vcc
	v_cndmask_b32_e32 v4, v4, v8, vcc
	s_andn2_b64 exec, exec, s[14:15]
	s_cbranch_execnz .LBB20_15
; %bb.16:                               ;   in Loop: Header=BB20_11 Depth=1
	s_or_b64 exec, exec, s[14:15]
.LBB20_17:                              ;   in Loop: Header=BB20_11 Depth=1
	s_or_b64 exec, exec, s[4:5]
	s_cmp_lt_i32 s62, 1
	ds_write_b64 v16, v[4:5]
	s_waitcnt lgkmcnt(0)
	s_barrier
	s_cbranch_scc1 .LBB20_38
; %bb.18:                               ;   in Loop: Header=BB20_11 Depth=1
	s_and_saveexec_b64 s[4:5], s[0:1]
	s_cbranch_execz .LBB20_22
; %bb.19:                               ;   in Loop: Header=BB20_11 Depth=1
	ds_read_b64 v[6:7], v16 offset:1024
	s_waitcnt lgkmcnt(0)
	v_cmp_lt_f64_e32 vcc, v[4:5], v[6:7]
	s_and_saveexec_b64 s[14:15], vcc
	s_cbranch_execz .LBB20_21
; %bb.20:                               ;   in Loop: Header=BB20_11 Depth=1
	v_pk_mov_b32 v[4:5], v[6:7], v[6:7] op_sel:[0,1]
	ds_write_b64 v16, v[6:7]
.LBB20_21:                              ;   in Loop: Header=BB20_11 Depth=1
	s_or_b64 exec, exec, s[14:15]
.LBB20_22:                              ;   in Loop: Header=BB20_11 Depth=1
	s_or_b64 exec, exec, s[4:5]
	s_waitcnt lgkmcnt(0)
	s_barrier
	s_and_saveexec_b64 s[4:5], s[2:3]
	s_cbranch_execz .LBB20_37
; %bb.23:                               ;   in Loop: Header=BB20_11 Depth=1
	ds_read_b64 v[6:7], v16 offset:512
	s_waitcnt lgkmcnt(0)
	v_cmp_lt_f64_e32 vcc, v[4:5], v[6:7]
	s_and_saveexec_b64 s[14:15], vcc
	s_cbranch_execz .LBB20_25
; %bb.24:                               ;   in Loop: Header=BB20_11 Depth=1
	v_pk_mov_b32 v[4:5], v[6:7], v[6:7] op_sel:[0,1]
	ds_write_b64 v16, v[6:7]
.LBB20_25:                              ;   in Loop: Header=BB20_11 Depth=1
	s_or_b64 exec, exec, s[14:15]
	ds_read_b64 v[6:7], v16 offset:256
	s_waitcnt lgkmcnt(0)
	v_cmp_lt_f64_e32 vcc, v[4:5], v[6:7]
	s_and_saveexec_b64 s[14:15], vcc
	s_cbranch_execz .LBB20_27
; %bb.26:                               ;   in Loop: Header=BB20_11 Depth=1
	v_pk_mov_b32 v[4:5], v[6:7], v[6:7] op_sel:[0,1]
	ds_write_b64 v16, v[6:7]
.LBB20_27:                              ;   in Loop: Header=BB20_11 Depth=1
	s_or_b64 exec, exec, s[14:15]
	;; [unrolled: 10-line block ×6, first 2 shown]
	ds_read_b64 v[6:7], v16 offset:8
	s_waitcnt lgkmcnt(0)
	v_cmp_lt_f64_e32 vcc, v[4:5], v[6:7]
	s_and_b64 exec, exec, vcc
	s_cbranch_execz .LBB20_37
; %bb.36:                               ;   in Loop: Header=BB20_11 Depth=1
	ds_write_b64 v16, v[6:7]
.LBB20_37:                              ;   in Loop: Header=BB20_11 Depth=1
	s_or_b64 exec, exec, s[4:5]
.LBB20_38:                              ;   in Loop: Header=BB20_11 Depth=1
	v_cmp_gt_i32_e32 vcc, s62, v0
	v_pk_mov_b32 v[4:5], 0, 0
	s_waitcnt lgkmcnt(0)
	s_barrier
	s_and_saveexec_b64 s[4:5], vcc
	s_cbranch_execz .LBB20_42
; %bb.39:                               ;   in Loop: Header=BB20_11 Depth=1
	s_lshl_b64 s[10:11], s[66:67], 3
	v_mov_b32_e32 v3, s11
	v_add_co_u32_e32 v6, vcc, s10, v19
	v_addc_co_u32_e32 v7, vcc, v20, v3, vcc
	s_mov_b64 s[14:15], 0
	v_pk_mov_b32 v[4:5], 0, 0
	v_mov_b32_e32 v3, v0
.LBB20_40:                              ;   Parent Loop BB20_11 Depth=1
                                        ; =>  This Inner Loop Header: Depth=2
	global_load_dwordx2 v[8:9], v[6:7], off
	v_add_co_u32_e32 v6, vcc, 0x800, v6
	v_add_u32_e32 v3, 0x100, v3
	v_addc_co_u32_e32 v7, vcc, 0, v7, vcc
	v_cmp_le_i32_e32 vcc, s62, v3
	s_or_b64 s[14:15], vcc, s[14:15]
	s_waitcnt vmcnt(0)
	v_and_b32_e32 v10, 0x7fffffff, v9
	v_cmp_lt_f64_e64 vcc, v[4:5], |v[8:9]|
	v_cndmask_b32_e32 v5, v5, v10, vcc
	v_cndmask_b32_e32 v4, v4, v8, vcc
	s_andn2_b64 exec, exec, s[14:15]
	s_cbranch_execnz .LBB20_40
; %bb.41:                               ;   in Loop: Header=BB20_11 Depth=1
	s_or_b64 exec, exec, s[14:15]
.LBB20_42:                              ;   in Loop: Header=BB20_11 Depth=1
	s_or_b64 exec, exec, s[4:5]
	s_cmp_lt_i32 s62, 2
	ds_write_b64 v16, v[4:5] offset:8
	s_waitcnt lgkmcnt(0)
	s_barrier
	s_cbranch_scc1 .LBB20_63
; %bb.43:                               ;   in Loop: Header=BB20_11 Depth=1
	s_and_saveexec_b64 s[4:5], s[0:1]
	s_cbranch_execz .LBB20_47
; %bb.44:                               ;   in Loop: Header=BB20_11 Depth=1
	ds_read_b64 v[6:7], v16 offset:1032
	s_waitcnt lgkmcnt(0)
	v_cmp_lt_f64_e32 vcc, v[4:5], v[6:7]
	s_and_saveexec_b64 s[14:15], vcc
	s_cbranch_execz .LBB20_46
; %bb.45:                               ;   in Loop: Header=BB20_11 Depth=1
	v_pk_mov_b32 v[4:5], v[6:7], v[6:7] op_sel:[0,1]
	ds_write_b64 v16, v[6:7] offset:8
.LBB20_46:                              ;   in Loop: Header=BB20_11 Depth=1
	s_or_b64 exec, exec, s[14:15]
.LBB20_47:                              ;   in Loop: Header=BB20_11 Depth=1
	s_or_b64 exec, exec, s[4:5]
	s_waitcnt lgkmcnt(0)
	s_barrier
	s_and_saveexec_b64 s[4:5], s[2:3]
	s_cbranch_execz .LBB20_62
; %bb.48:                               ;   in Loop: Header=BB20_11 Depth=1
	ds_read_b64 v[6:7], v16 offset:520
	s_waitcnt lgkmcnt(0)
	v_cmp_lt_f64_e32 vcc, v[4:5], v[6:7]
	s_and_saveexec_b64 s[14:15], vcc
	s_cbranch_execz .LBB20_50
; %bb.49:                               ;   in Loop: Header=BB20_11 Depth=1
	v_pk_mov_b32 v[4:5], v[6:7], v[6:7] op_sel:[0,1]
	ds_write_b64 v16, v[6:7] offset:8
.LBB20_50:                              ;   in Loop: Header=BB20_11 Depth=1
	s_or_b64 exec, exec, s[14:15]
	ds_read_b64 v[6:7], v16 offset:264
	s_waitcnt lgkmcnt(0)
	v_cmp_lt_f64_e32 vcc, v[4:5], v[6:7]
	s_and_saveexec_b64 s[14:15], vcc
	s_cbranch_execz .LBB20_52
; %bb.51:                               ;   in Loop: Header=BB20_11 Depth=1
	v_pk_mov_b32 v[4:5], v[6:7], v[6:7] op_sel:[0,1]
	ds_write_b64 v16, v[6:7] offset:8
.LBB20_52:                              ;   in Loop: Header=BB20_11 Depth=1
	s_or_b64 exec, exec, s[14:15]
	;; [unrolled: 10-line block ×6, first 2 shown]
	ds_read_b64 v[6:7], v16 offset:16
	s_waitcnt lgkmcnt(0)
	v_cmp_lt_f64_e32 vcc, v[4:5], v[6:7]
	s_and_b64 exec, exec, vcc
	s_cbranch_execz .LBB20_62
; %bb.61:                               ;   in Loop: Header=BB20_11 Depth=1
	ds_write_b64 v16, v[6:7] offset:8
.LBB20_62:                              ;   in Loop: Header=BB20_11 Depth=1
	s_or_b64 exec, exec, s[4:5]
.LBB20_63:                              ;   in Loop: Header=BB20_11 Depth=1
	s_lshl_b64 s[68:69], s[66:67], 3
	s_add_u32 s10, s44, s68
	s_addc_u32 s11, s50, s69
	s_add_u32 s14, s22, s68
	s_addc_u32 s15, s33, s69
	s_waitcnt lgkmcnt(0)
	s_barrier
	s_and_saveexec_b64 s[70:71], s[16:17]
	s_cbranch_execz .LBB20_78
; %bb.64:                               ;   in Loop: Header=BB20_11 Depth=1
	s_ashr_i32 s65, s64, 31
	s_lshl_b64 s[4:5], s[64:65], 3
	s_add_u32 s4, s22, s4
	s_addc_u32 s5, s33, s5
	global_load_dwordx2 v[4:5], v2, s[14:15]
	global_load_dwordx2 v[6:7], v2, s[4:5]
	s_ashr_i32 s63, s62, 31
	s_lshl_b64 s[4:5], s[62:63], 3
	s_add_u32 s21, s14, s4
	s_addc_u32 s30, s15, s5
	s_waitcnt vmcnt(0)
	v_cmp_ge_f64_e64 s[4:5], |v[4:5]|, |v[6:7]|
	s_and_b64 s[28:29], s[4:5], exec
	s_cselect_b32 s29, s15, s30
	s_cselect_b32 s28, s14, s21
	global_load_dwordx2 v[8:9], v2, s[28:29]
	v_cndmask_b32_e64 v3, 0, 1, s[4:5]
	s_cmp_lt_i32 s62, 1
	ds_write_b32 v2, v3 offset:2064
	s_waitcnt vmcnt(0)
	v_and_b32_e32 v9, 0x7fffffff, v9
	s_cbranch_scc1 .LBB20_71
; %bb.65:                               ;   in Loop: Header=BB20_11 Depth=1
	s_not_b32 s21, s66
	s_add_i32 s21, s21, s64
	s_mov_b32 s28, 0
	v_pk_mov_b32 v[10:11], v[8:9], v[8:9] op_sel:[0,1]
	s_branch .LBB20_67
.LBB20_66:                              ;   in Loop: Header=BB20_67 Depth=2
	s_add_i32 s28, s28, 1
	s_and_b64 s[38:39], s[4:5], exec
	s_cselect_b32 s38, s28, s21
	s_ashr_i32 s39, s38, 31
	s_lshl_b64 s[38:39], s[38:39], 3
	s_add_u32 s38, s14, s38
	s_addc_u32 s39, s15, s39
	global_load_dwordx2 v[14:15], v2, s[38:39]
	v_add_f64 v[12:13], v[10:11], |v[12:13]|
	v_div_scale_f64 v[28:29], s[38:39], v[12:13], v[12:13], v[10:11]
	v_rcp_f64_e32 v[30:31], v[28:29]
	v_div_scale_f64 v[32:33], vcc, v[10:11], v[12:13], v[10:11]
	s_add_i32 s21, s21, -1
	v_fma_f64 v[34:35], -v[28:29], v[30:31], 1.0
	v_fmac_f64_e32 v[30:31], v[30:31], v[34:35]
	v_fma_f64 v[34:35], -v[28:29], v[30:31], 1.0
	v_fmac_f64_e32 v[30:31], v[30:31], v[34:35]
	v_mul_f64 v[34:35], v[32:33], v[30:31]
	v_fma_f64 v[28:29], -v[28:29], v[34:35], v[32:33]
	v_div_fmas_f64 v[28:29], v[28:29], v[30:31], v[34:35]
	v_div_fixup_f64 v[10:11], v[28:29], v[12:13], v[10:11]
	s_cmp_eq_u32 s21, -1
	s_mov_b64 s[38:39], 0
	s_cselect_b64 s[72:73], -1, 0
	s_waitcnt vmcnt(0)
	v_mul_f64 v[10:11], v[10:11], |v[14:15]|
	v_cmp_lt_f64_e32 vcc, v[10:11], v[8:9]
	v_cndmask_b32_e32 v9, v9, v11, vcc
	v_cndmask_b32_e32 v8, v8, v10, vcc
	s_andn2_b64 vcc, exec, s[72:73]
	s_cbranch_vccz .LBB20_69
.LBB20_67:                              ;   Parent Loop BB20_11 Depth=1
                                        ; =>  This Inner Loop Header: Depth=2
	s_and_b64 s[30:31], s[4:5], exec
	s_cselect_b32 s30, s28, s21
	s_ashr_i32 s31, s30, 31
	s_lshl_b64 s[30:31], s[30:31], 3
	s_add_u32 s30, s10, s30
	s_addc_u32 s31, s11, s31
	global_load_dwordx2 v[12:13], v2, s[30:31]
	v_mul_f64 v[14:15], v[10:11], s[24:25]
	s_waitcnt vmcnt(0)
	v_cmp_nle_f64_e64 s[38:39], |v[12:13]|, v[14:15]
	s_and_b64 vcc, exec, s[38:39]
	s_cbranch_vccnz .LBB20_66
; %bb.68:                               ;   in Loop: Header=BB20_11 Depth=1
	s_mov_b64 s[38:39], -1
                                        ; implicit-def: $vgpr10_vgpr11
                                        ; implicit-def: $sgpr21
                                        ; implicit-def: $sgpr28
                                        ; implicit-def: $vgpr8_vgpr9
.LBB20_69:                              ;   in Loop: Header=BB20_11 Depth=1
	s_and_b64 vcc, exec, s[38:39]
	s_cbranch_vccz .LBB20_71
; %bb.70:                               ;   in Loop: Header=BB20_11 Depth=1
	v_mov_b32_e32 v8, 0
	v_mov_b32_e32 v3, v2
	;; [unrolled: 1-line block ×3, first 2 shown]
	global_store_dwordx2 v2, v[2:3], s[30:31]
.LBB20_71:                              ;   in Loop: Header=BB20_11 Depth=1
	v_cmp_nle_f64_e32 vcc, 0, v[8:9]
	v_and_b32_e32 v3, 0x7fffffff, v5
	v_and_b32_e32 v5, 0x7fffffff, v7
	ds_write_b64 v2, v[8:9] offset:2056
	ds_write_b8 v2, v2 offset:2068
	s_cbranch_vccnz .LBB20_78
; %bb.72:                               ;   in Loop: Header=BB20_11 Depth=1
	ds_read_b128 v[10:13], v2
	s_mov_b64 s[30:31], -1
	s_waitcnt lgkmcnt(0)
	v_cmp_lt_f64_e32 vcc, v[10:11], v[12:13]
	v_cndmask_b32_e32 v11, v11, v13, vcc
	v_cndmask_b32_e32 v10, v10, v12, vcc
	v_div_scale_f64 v[12:13], s[28:29], v[10:11], v[10:11], v[8:9]
	v_rcp_f64_e32 v[14:15], v[12:13]
	v_div_scale_f64 v[28:29], vcc, v[8:9], v[10:11], v[8:9]
	v_fma_f64 v[30:31], -v[12:13], v[14:15], 1.0
	v_fmac_f64_e32 v[14:15], v[14:15], v[30:31]
	v_fma_f64 v[30:31], -v[12:13], v[14:15], 1.0
	v_fmac_f64_e32 v[14:15], v[14:15], v[30:31]
	v_mul_f64 v[30:31], v[28:29], v[14:15]
	v_fma_f64 v[12:13], -v[12:13], v[30:31], v[28:29]
	v_div_fmas_f64 v[12:13], v[12:13], v[14:15], v[30:31]
	v_div_fixup_f64 v[10:11], v[12:13], v[10:11], v[8:9]
	v_cmp_ge_f64_e32 vcc, s[26:27], v[10:11]
	s_cbranch_vccnz .LBB20_75
; %bb.73:                               ;   in Loop: Header=BB20_11 Depth=1
	v_cndmask_b32_e64 v5, v5, v3, s[4:5]
	v_cndmask_b32_e64 v4, v6, v4, s[4:5]
	v_cmp_lt_f64_e32 vcc, 0, v[4:5]
	s_mov_b64 s[30:31], 0
	s_cbranch_vccz .LBB20_75
; %bb.74:                               ;   in Loop: Header=BB20_11 Depth=1
	v_mul_f64 v[6:7], v[8:9], v[8:9]
	v_div_scale_f64 v[8:9], s[4:5], v[4:5], v[4:5], v[6:7]
	v_rcp_f64_e32 v[10:11], v[8:9]
	v_div_scale_f64 v[12:13], vcc, v[6:7], v[4:5], v[6:7]
	v_fma_f64 v[14:15], -v[8:9], v[10:11], 1.0
	v_fmac_f64_e32 v[10:11], v[10:11], v[14:15]
	v_fma_f64 v[14:15], -v[8:9], v[10:11], 1.0
	v_fmac_f64_e32 v[10:11], v[10:11], v[14:15]
	v_mul_f64 v[14:15], v[12:13], v[10:11]
	v_fma_f64 v[8:9], -v[8:9], v[14:15], v[12:13]
	v_div_fmas_f64 v[8:9], v[8:9], v[10:11], v[14:15]
	v_div_fixup_f64 v[6:7], v[8:9], v[4:5], v[6:7]
	v_div_scale_f64 v[8:9], s[4:5], v[4:5], v[4:5], v[6:7]
	v_rcp_f64_e32 v[10:11], v[8:9]
	v_readlane_b32 s4, v36, 12
	v_readlane_b32 s5, v36, 13
	v_fma_f64 v[12:13], -v[8:9], v[10:11], 1.0
	v_fmac_f64_e32 v[10:11], v[10:11], v[12:13]
	v_fma_f64 v[12:13], -v[8:9], v[10:11], 1.0
	v_fmac_f64_e32 v[10:11], v[10:11], v[12:13]
	v_div_scale_f64 v[12:13], vcc, v[6:7], v[4:5], v[6:7]
	v_mul_f64 v[14:15], v[12:13], v[10:11]
	v_fma_f64 v[8:9], -v[8:9], v[14:15], v[12:13]
	s_nop 1
	v_div_fmas_f64 v[8:9], v[8:9], v[10:11], v[14:15]
	v_div_fixup_f64 v[4:5], v[8:9], v[4:5], v[6:7]
	v_cmp_gt_f64_e64 s[30:31], s[4:5], v[4:5]
.LBB20_75:                              ;   in Loop: Header=BB20_11 Depth=1
	s_and_b64 vcc, exec, s[30:31]
	s_cbranch_vccz .LBB20_77
; %bb.76:                               ;   in Loop: Header=BB20_11 Depth=1
	v_mov_b32_e32 v3, v2
	ds_write_b64 v2, v[2:3] offset:2056
.LBB20_77:                              ;   in Loop: Header=BB20_11 Depth=1
	ds_write_b8 v2, v26 offset:2068
.LBB20_78:                              ;   in Loop: Header=BB20_11 Depth=1
	s_or_b64 exec, exec, s[70:71]
	s_waitcnt lgkmcnt(0)
	s_barrier
	ds_read_u8 v3, v2 offset:2068
	s_mov_b64 s[4:5], -1
	s_waitcnt lgkmcnt(0)
	v_cmp_eq_u32_e32 vcc, 0, v3
	s_cbranch_vccz .LBB20_82
; %bb.79:                               ;   in Loop: Header=BB20_11 Depth=1
	s_and_saveexec_b64 s[4:5], s[16:17]
	s_cbranch_execz .LBB20_81
; %bb.80:                               ;   in Loop: Header=BB20_11 Depth=1
	global_store_dword v2, v2, s[12:13]
.LBB20_81:                              ;   in Loop: Header=BB20_11 Depth=1
	s_or_b64 exec, exec, s[4:5]
	s_mov_b64 s[4:5], 0
.LBB20_82:                              ;   in Loop: Header=BB20_11 Depth=1
	s_andn2_b64 vcc, exec, s[4:5]
	s_cbranch_vccnz .LBB20_10
; %bb.83:                               ;   in Loop: Header=BB20_11 Depth=1
	ds_read_b32 v3, v2 offset:2064
	s_waitcnt lgkmcnt(0)
	v_readfirstlane_b32 s70, v3
	s_and_saveexec_b64 s[4:5], s[16:17]
	s_cbranch_execz .LBB20_85
; %bb.84:                               ;   in Loop: Header=BB20_11 Depth=1
	s_cmp_eq_u32 s70, 0
	s_cselect_b32 s21, -1, 1
	v_mov_b32_e32 v3, s21
	global_store_dword v2, v3, s[12:13]
.LBB20_85:                              ;   in Loop: Header=BB20_11 Depth=1
	s_or_b64 exec, exec, s[4:5]
	s_add_i32 s80, s62, 1
	s_mul_i32 s72, s66, s79
	s_sub_i32 s78, 1, s70
	s_ashr_i32 s73, s72, 31
	s_sub_i32 s74, s70, s78
	s_lshl_b32 s12, s80, 1
	s_and_b64 s[4:5], s[36:37], exec
	s_cselect_b32 s63, s12, 0
	s_and_saveexec_b64 s[4:5], s[16:17]
	s_cbranch_execz .LBB20_158
; %bb.86:                               ;   in Loop: Header=BB20_11 Depth=1
	s_cmp_lg_u32 s70, 0
	s_cselect_b64 s[76:77], -1, 0
	s_and_b64 s[12:13], s[76:77], exec
	s_cselect_b32 s86, 0, s62
	s_ashr_i32 s87, s86, 31
	s_lshl_b64 s[12:13], s[86:87], 3
	s_add_u32 s14, s14, s12
	s_addc_u32 s15, s15, s13
	global_load_dwordx2 v[4:5], v2, s[14:15]
	v_pk_mov_b32 v[6:7], 0, 0
	s_waitcnt vmcnt(0)
	v_cmp_eq_f64_e32 vcc, 0, v[4:5]
	s_cbranch_vccnz .LBB20_88
; %bb.87:                               ;   in Loop: Header=BB20_11 Depth=1
	ds_read_b64 v[6:7], v2 offset:2056
	v_cmp_lt_f64_e32 vcc, 0, v[4:5]
	v_cndmask_b32_e64 v3, 0, 1, vcc
	v_cmp_gt_f64_e32 vcc, 0, v[4:5]
	v_subbrev_co_u32_e32 v3, vcc, 0, v3, vcc
	s_waitcnt lgkmcnt(0)
	v_div_scale_f64 v[8:9], s[12:13], v[4:5], v[4:5], v[6:7]
	v_rcp_f64_e32 v[10:11], v[8:9]
	v_add_f64 v[12:13], |v[4:5]|, -v[6:7]
	v_cvt_f64_i32_e32 v[14:15], v3
	v_fma_f64 v[28:29], -v[8:9], v[10:11], 1.0
	v_fmac_f64_e32 v[10:11], v[10:11], v[28:29]
	v_fma_f64 v[28:29], -v[8:9], v[10:11], 1.0
	v_fmac_f64_e32 v[10:11], v[10:11], v[28:29]
	v_div_scale_f64 v[28:29], vcc, v[6:7], v[4:5], v[6:7]
	v_mul_f64 v[30:31], v[28:29], v[10:11]
	v_fma_f64 v[8:9], -v[8:9], v[30:31], v[28:29]
	s_nop 1
	v_div_fmas_f64 v[8:9], v[8:9], v[10:11], v[30:31]
	v_div_fixup_f64 v[6:7], v[8:9], v[4:5], v[6:7]
	v_add_f64 v[6:7], v[6:7], v[14:15]
	v_mul_f64 v[6:7], v[12:13], v[6:7]
.LBB20_88:                              ;   in Loop: Header=BB20_11 Depth=1
	s_cmp_gt_i32 s62, 0
	s_cbranch_scc1 .LBB20_90
; %bb.89:                               ;   in Loop: Header=BB20_11 Depth=1
	s_add_i32 s65, s62, -1
	s_cbranch_execz .LBB20_91
	s_branch .LBB20_157
.LBB20_90:                              ;   in Loop: Header=BB20_11 Depth=1
                                        ; implicit-def: $sgpr65
.LBB20_91:                              ;   in Loop: Header=BB20_11 Depth=1
	s_ashr_i32 s71, s70, 31
	s_sub_u32 s29, 0, s70
	v_writelane_b32 v36, s82, 22
	s_subb_u32 s30, 0, s71
	v_writelane_b32 v36, s83, 23
	s_add_u32 s82, s86, s70
	s_addc_u32 s83, s87, s71
	s_lshl_b64 s[84:85], s[82:83], 3
	s_add_u32 s88, s10, s84
	s_addc_u32 s89, s11, s85
	global_load_dwordx2 v[8:9], v2, s[88:89] offset:-8
	v_writelane_b32 v36, s74, 24
	v_writelane_b32 v36, s75, 25
	;; [unrolled: 1-line block ×4, first 2 shown]
	v_pk_mov_b32 v[10:11], 0, 0
	v_writelane_b32 v36, s92, 28
	v_writelane_b32 v36, s93, 29
	s_waitcnt vmcnt(0)
	v_cmp_eq_f64_e32 vcc, 0, v[8:9]
	s_cbranch_vccnz .LBB20_95
; %bb.92:                               ;   in Loop: Header=BB20_11 Depth=1
	v_cmp_eq_f64_e32 vcc, 0, v[6:7]
	v_pk_mov_b32 v[12:13], 0, 0
	s_cbranch_vccnz .LBB20_96
; %bb.93:                               ;   in Loop: Header=BB20_11 Depth=1
	v_cmp_gt_f64_e64 s[12:13], |v[8:9]|, |v[6:7]|
	s_and_b64 vcc, exec, s[12:13]
	s_cbranch_vccnz .LBB20_97
; %bb.94:                               ;   in Loop: Header=BB20_11 Depth=1
	v_div_scale_f64 v[10:11], s[12:13], v[6:7], v[6:7], -v[8:9]
	v_rcp_f64_e32 v[12:13], v[10:11]
	v_div_scale_f64 v[14:15], vcc, -v[8:9], v[6:7], -v[8:9]
	v_fma_f64 v[28:29], -v[10:11], v[12:13], 1.0
	v_fmac_f64_e32 v[12:13], v[12:13], v[28:29]
	v_fma_f64 v[28:29], -v[10:11], v[12:13], 1.0
	v_fmac_f64_e32 v[12:13], v[12:13], v[28:29]
	v_mul_f64 v[28:29], v[14:15], v[12:13]
	v_fma_f64 v[10:11], -v[10:11], v[28:29], v[14:15]
	v_div_fmas_f64 v[10:11], v[10:11], v[12:13], v[28:29]
	v_div_fixup_f64 v[10:11], v[10:11], v[6:7], -v[8:9]
	v_fma_f64 v[12:13], v[10:11], v[10:11], 1.0
	v_cmp_gt_f64_e32 vcc, s[40:41], v[12:13]
	v_cndmask_b32_e64 v3, 0, 1, vcc
	v_lshlrev_b32_e32 v3, 8, v3
	v_ldexp_f64 v[12:13], v[12:13], v3
	v_rsq_f64_e32 v[14:15], v[12:13]
	s_and_b64 s[12:13], vcc, exec
	s_cselect_b32 s12, 0xffffff80, 0
	v_cmp_class_f64_e32 vcc, v[12:13], v25
	v_mul_f64 v[28:29], v[12:13], v[14:15]
	v_mul_f64 v[14:15], v[14:15], 0.5
	v_fma_f64 v[30:31], -v[14:15], v[28:29], 0.5
	v_fmac_f64_e32 v[28:29], v[28:29], v[30:31]
	v_fmac_f64_e32 v[14:15], v[14:15], v[30:31]
	v_fma_f64 v[30:31], -v[28:29], v[28:29], v[12:13]
	v_fmac_f64_e32 v[28:29], v[30:31], v[14:15]
	v_fma_f64 v[30:31], -v[28:29], v[28:29], v[12:13]
	v_fmac_f64_e32 v[28:29], v[30:31], v[14:15]
	v_ldexp_f64 v[14:15], v[28:29], s12
	v_cndmask_b32_e32 v13, v15, v13, vcc
	v_cndmask_b32_e32 v12, v14, v12, vcc
	v_div_scale_f64 v[14:15], s[12:13], v[12:13], v[12:13], 1.0
	v_rcp_f64_e32 v[28:29], v[14:15]
	s_mov_b64 s[12:13], 0
	v_fma_f64 v[30:31], -v[14:15], v[28:29], 1.0
	v_fmac_f64_e32 v[28:29], v[28:29], v[30:31]
	v_fma_f64 v[30:31], -v[14:15], v[28:29], 1.0
	v_fmac_f64_e32 v[28:29], v[28:29], v[30:31]
	v_div_scale_f64 v[30:31], vcc, 1.0, v[12:13], 1.0
	v_mul_f64 v[32:33], v[30:31], v[28:29]
	v_fma_f64 v[14:15], -v[14:15], v[32:33], v[30:31]
	s_nop 1
	v_div_fmas_f64 v[14:15], v[14:15], v[28:29], v[32:33]
	v_div_fixup_f64 v[12:13], v[14:15], v[12:13], 1.0
	v_mul_f64 v[10:11], v[10:11], v[12:13]
	s_branch .LBB20_98
.LBB20_95:                              ;   in Loop: Header=BB20_11 Depth=1
	v_mov_b32_e32 v12, 0
	v_mov_b32_e32 v13, 0x3ff00000
	s_branch .LBB20_100
.LBB20_96:                              ;   in Loop: Header=BB20_11 Depth=1
	v_mov_b32_e32 v10, 0
	v_mov_b32_e32 v11, 0x3ff00000
	s_branch .LBB20_100
.LBB20_97:                              ;   in Loop: Header=BB20_11 Depth=1
	s_mov_b64 s[12:13], -1
                                        ; implicit-def: $vgpr10_vgpr11
                                        ; implicit-def: $vgpr12_vgpr13
.LBB20_98:                              ;   in Loop: Header=BB20_11 Depth=1
	s_andn2_b64 vcc, exec, s[12:13]
	s_cbranch_vccnz .LBB20_100
; %bb.99:                               ;   in Loop: Header=BB20_11 Depth=1
	v_div_scale_f64 v[10:11], s[12:13], v[8:9], v[8:9], -v[6:7]
	v_rcp_f64_e32 v[12:13], v[10:11]
	v_div_scale_f64 v[14:15], vcc, -v[6:7], v[8:9], -v[6:7]
	v_fma_f64 v[28:29], -v[10:11], v[12:13], 1.0
	v_fmac_f64_e32 v[12:13], v[12:13], v[28:29]
	v_fma_f64 v[28:29], -v[10:11], v[12:13], 1.0
	v_fmac_f64_e32 v[12:13], v[12:13], v[28:29]
	v_mul_f64 v[28:29], v[14:15], v[12:13]
	v_fma_f64 v[10:11], -v[10:11], v[28:29], v[14:15]
	v_div_fmas_f64 v[10:11], v[10:11], v[12:13], v[28:29]
	v_div_fixup_f64 v[6:7], v[10:11], v[8:9], -v[6:7]
	v_fma_f64 v[10:11], v[6:7], v[6:7], 1.0
	v_cmp_gt_f64_e32 vcc, s[40:41], v[10:11]
	v_cndmask_b32_e64 v3, 0, 1, vcc
	v_lshlrev_b32_e32 v3, 8, v3
	v_ldexp_f64 v[10:11], v[10:11], v3
	v_rsq_f64_e32 v[12:13], v[10:11]
	s_and_b64 s[12:13], vcc, exec
	s_cselect_b32 s12, 0xffffff80, 0
	v_cmp_class_f64_e32 vcc, v[10:11], v25
	v_mul_f64 v[14:15], v[10:11], v[12:13]
	v_mul_f64 v[12:13], v[12:13], 0.5
	v_fma_f64 v[28:29], -v[12:13], v[14:15], 0.5
	v_fmac_f64_e32 v[14:15], v[14:15], v[28:29]
	v_fmac_f64_e32 v[12:13], v[12:13], v[28:29]
	v_fma_f64 v[28:29], -v[14:15], v[14:15], v[10:11]
	v_fmac_f64_e32 v[14:15], v[28:29], v[12:13]
	v_fma_f64 v[28:29], -v[14:15], v[14:15], v[10:11]
	v_fmac_f64_e32 v[14:15], v[28:29], v[12:13]
	v_ldexp_f64 v[12:13], v[14:15], s12
	v_cndmask_b32_e32 v11, v13, v11, vcc
	v_cndmask_b32_e32 v10, v12, v10, vcc
	v_div_scale_f64 v[12:13], s[12:13], v[10:11], v[10:11], 1.0
	v_rcp_f64_e32 v[14:15], v[12:13]
	v_fma_f64 v[28:29], -v[12:13], v[14:15], 1.0
	v_fmac_f64_e32 v[14:15], v[14:15], v[28:29]
	v_fma_f64 v[28:29], -v[12:13], v[14:15], 1.0
	v_fmac_f64_e32 v[14:15], v[14:15], v[28:29]
	v_div_scale_f64 v[28:29], vcc, 1.0, v[10:11], 1.0
	v_mul_f64 v[30:31], v[28:29], v[14:15]
	v_fma_f64 v[12:13], -v[12:13], v[30:31], v[28:29]
	s_nop 1
	v_div_fmas_f64 v[12:13], v[12:13], v[14:15], v[30:31]
	v_div_fixup_f64 v[10:11], v[12:13], v[10:11], 1.0
	v_mul_f64 v[12:13], v[6:7], v[10:11]
.LBB20_100:                             ;   in Loop: Header=BB20_11 Depth=1
	s_lshl_b64 s[90:91], s[72:73], 3
	s_and_b64 s[38:39], s[36:37], s[76:77]
	s_add_u32 s12, s54, s90
	s_addc_u32 s13, s55, s91
	s_add_u32 s21, s12, 32
	s_addc_u32 s28, s13, 0
	s_sub_u32 s92, s70, s29
	s_subb_u32 s93, s71, s30
	v_mul_f64 v[6:7], v[4:5], v[10:11]
	s_lshl_b64 s[12:13], s[92:93], 3
	v_fmac_f64_e32 v[6:7], v[8:9], v[12:13]
	s_add_u32 s30, s14, s12
	global_store_dwordx2 v2, v[6:7], s[88:89] offset:-8
	s_addc_u32 s31, s15, s13
	global_load_dwordx2 v[14:15], v2, s[30:31] offset:-8
	v_cndmask_b32_e64 v3, 0, 1, s[38:39]
	v_writelane_b32 v36, s94, 30
	v_cmp_ne_u32_e64 s[12:13], 1, v3
	s_andn2_b64 vcc, exec, s[38:39]
	v_writelane_b32 v36, s95, 31
	s_waitcnt vmcnt(0)
	v_mul_f64 v[6:7], v[12:13], v[14:15]
	global_store_dwordx2 v2, v[6:7], s[30:31] offset:-8
	s_cbranch_vccnz .LBB20_102
; %bb.101:                              ;   in Loop: Header=BB20_11 Depth=1
	s_add_u32 s38, s21, s84
	s_addc_u32 s39, s28, s85
	s_ashr_i32 s81, s80, 31
	s_lshl_b64 s[42:43], s[80:81], 3
	s_add_u32 s42, s38, s42
	s_addc_u32 s43, s39, s43
	global_store_dwordx2 v2, v[12:13], s[38:39] offset:-8
	global_store_dwordx2 v2, v[10:11], s[42:43] offset:-8
.LBB20_102:                             ;   in Loop: Header=BB20_11 Depth=1
	s_cmp_lg_u32 s70, 1
	s_cselect_b64 s[38:39], -1, 0
	s_cmp_eq_u32 s70, 1
	v_readlane_b32 s56, v36, 2
	s_cselect_b64 s[42:43], -1, 0
	v_readlane_b32 s57, v36, 3
	s_or_b64 s[94:95], s[56:57], s[42:43]
	s_and_b64 vcc, exec, s[94:95]
	s_cbranch_vccnz .LBB20_104
; %bb.103:                              ;   in Loop: Header=BB20_11 Depth=1
	s_ashr_i32 s29, s63, 31
	s_add_u32 s42, s82, s63
	s_addc_u32 s43, s83, s29
	s_lshl_b64 s[42:43], s[42:43], 3
	s_add_u32 s42, s21, s42
	s_addc_u32 s43, s28, s43
	s_ashr_i32 s81, s80, 31
	s_lshl_b64 s[56:57], s[80:81], 3
	s_add_u32 s56, s42, s56
	s_addc_u32 s57, s43, s57
	global_store_dwordx2 v2, v[12:13], s[42:43] offset:-8
	global_store_dwordx2 v2, v[10:11], s[56:57] offset:-8
.LBB20_104:                             ;   in Loop: Header=BB20_11 Depth=1
	v_mul_f64 v[6:7], v[8:9], v[10:11]
	v_fma_f64 v[6:7], v[4:5], v[12:13], -v[6:7]
	v_mul_f64 v[4:5], v[14:15], -v[10:11]
	v_cmp_eq_f64_e32 vcc, 0, v[4:5]
	v_pk_mov_b32 v[8:9], 0, 0
	s_cbranch_vccnz .LBB20_108
; %bb.105:                              ;   in Loop: Header=BB20_11 Depth=1
	v_cmp_eq_f64_e32 vcc, 0, v[6:7]
	s_cbranch_vccnz .LBB20_109
; %bb.106:                              ;   in Loop: Header=BB20_11 Depth=1
	v_cmp_gt_f64_e64 s[42:43], |v[4:5]|, |v[6:7]|
	s_and_b64 vcc, exec, s[42:43]
	s_cbranch_vccnz .LBB20_110
; %bb.107:                              ;   in Loop: Header=BB20_11 Depth=1
	v_div_scale_f64 v[8:9], s[42:43], v[6:7], v[6:7], -v[4:5]
	v_rcp_f64_e32 v[10:11], v[8:9]
	v_div_scale_f64 v[12:13], vcc, -v[4:5], v[6:7], -v[4:5]
	v_fma_f64 v[14:15], -v[8:9], v[10:11], 1.0
	v_fmac_f64_e32 v[10:11], v[10:11], v[14:15]
	v_fma_f64 v[14:15], -v[8:9], v[10:11], 1.0
	v_fmac_f64_e32 v[10:11], v[10:11], v[14:15]
	v_mul_f64 v[14:15], v[12:13], v[10:11]
	v_fma_f64 v[8:9], -v[8:9], v[14:15], v[12:13]
	v_div_fmas_f64 v[8:9], v[8:9], v[10:11], v[14:15]
	v_div_fixup_f64 v[8:9], v[8:9], v[6:7], -v[4:5]
	v_fma_f64 v[10:11], v[8:9], v[8:9], 1.0
	v_cmp_gt_f64_e32 vcc, s[40:41], v[10:11]
	v_cndmask_b32_e64 v3, 0, 1, vcc
	v_lshlrev_b32_e32 v3, 8, v3
	v_ldexp_f64 v[10:11], v[10:11], v3
	v_rsq_f64_e32 v[12:13], v[10:11]
	s_and_b64 s[42:43], vcc, exec
	s_cselect_b32 s29, 0xffffff80, 0
	v_cmp_class_f64_e32 vcc, v[10:11], v25
	v_mul_f64 v[14:15], v[10:11], v[12:13]
	v_mul_f64 v[12:13], v[12:13], 0.5
	v_fma_f64 v[28:29], -v[12:13], v[14:15], 0.5
	v_fmac_f64_e32 v[14:15], v[14:15], v[28:29]
	v_fmac_f64_e32 v[12:13], v[12:13], v[28:29]
	v_fma_f64 v[28:29], -v[14:15], v[14:15], v[10:11]
	v_fmac_f64_e32 v[14:15], v[28:29], v[12:13]
	v_fma_f64 v[28:29], -v[14:15], v[14:15], v[10:11]
	v_fmac_f64_e32 v[14:15], v[28:29], v[12:13]
	v_ldexp_f64 v[12:13], v[14:15], s29
	v_cndmask_b32_e32 v11, v13, v11, vcc
	v_cndmask_b32_e32 v10, v12, v10, vcc
	v_div_scale_f64 v[12:13], s[42:43], v[10:11], v[10:11], 1.0
	v_rcp_f64_e32 v[14:15], v[12:13]
	v_fma_f64 v[28:29], -v[12:13], v[14:15], 1.0
	v_fmac_f64_e32 v[14:15], v[14:15], v[28:29]
	v_fma_f64 v[28:29], -v[12:13], v[14:15], 1.0
	v_fmac_f64_e32 v[14:15], v[14:15], v[28:29]
	v_div_scale_f64 v[28:29], vcc, 1.0, v[10:11], 1.0
	v_mul_f64 v[30:31], v[28:29], v[14:15]
	v_fma_f64 v[12:13], -v[12:13], v[30:31], v[28:29]
	s_nop 1
	v_div_fmas_f64 v[12:13], v[12:13], v[14:15], v[30:31]
	v_div_fixup_f64 v[10:11], v[12:13], v[10:11], 1.0
	v_mul_f64 v[8:9], v[8:9], v[10:11]
	s_mov_b64 vcc, 0
	s_branch .LBB20_111
.LBB20_108:                             ;   in Loop: Header=BB20_11 Depth=1
	v_mov_b32_e32 v10, 0
	v_mov_b32_e32 v11, 0x3ff00000
	s_branch .LBB20_115
.LBB20_109:                             ;   in Loop: Header=BB20_11 Depth=1
                                        ; implicit-def: $vgpr6_vgpr7
                                        ; implicit-def: $vgpr8_vgpr9
                                        ; implicit-def: $vgpr10_vgpr11
	s_cbranch_execnz .LBB20_114
	s_branch .LBB20_115
.LBB20_110:                             ;   in Loop: Header=BB20_11 Depth=1
	s_mov_b64 vcc, -1
                                        ; implicit-def: $vgpr8_vgpr9
                                        ; implicit-def: $vgpr10_vgpr11
.LBB20_111:                             ;   in Loop: Header=BB20_11 Depth=1
	s_andn2_b64 vcc, exec, vcc
	s_cbranch_vccnz .LBB20_113
; %bb.112:                              ;   in Loop: Header=BB20_11 Depth=1
	v_div_scale_f64 v[8:9], s[42:43], v[4:5], v[4:5], -v[6:7]
	v_rcp_f64_e32 v[10:11], v[8:9]
	v_div_scale_f64 v[12:13], vcc, -v[6:7], v[4:5], -v[6:7]
	v_fma_f64 v[14:15], -v[8:9], v[10:11], 1.0
	v_fmac_f64_e32 v[10:11], v[10:11], v[14:15]
	v_fma_f64 v[14:15], -v[8:9], v[10:11], 1.0
	v_fmac_f64_e32 v[10:11], v[10:11], v[14:15]
	v_mul_f64 v[14:15], v[12:13], v[10:11]
	v_fma_f64 v[8:9], -v[8:9], v[14:15], v[12:13]
	v_div_fmas_f64 v[8:9], v[8:9], v[10:11], v[14:15]
	v_div_fixup_f64 v[10:11], v[8:9], v[4:5], -v[6:7]
	v_fma_f64 v[8:9], v[10:11], v[10:11], 1.0
	v_cmp_gt_f64_e32 vcc, s[40:41], v[8:9]
	v_cndmask_b32_e64 v3, 0, 1, vcc
	v_lshlrev_b32_e32 v3, 8, v3
	v_ldexp_f64 v[8:9], v[8:9], v3
	v_rsq_f64_e32 v[12:13], v[8:9]
	s_and_b64 s[42:43], vcc, exec
	s_cselect_b32 s29, 0xffffff80, 0
	v_cmp_class_f64_e32 vcc, v[8:9], v25
	v_mul_f64 v[14:15], v[8:9], v[12:13]
	v_mul_f64 v[12:13], v[12:13], 0.5
	v_fma_f64 v[28:29], -v[12:13], v[14:15], 0.5
	v_fmac_f64_e32 v[14:15], v[14:15], v[28:29]
	v_fmac_f64_e32 v[12:13], v[12:13], v[28:29]
	v_fma_f64 v[28:29], -v[14:15], v[14:15], v[8:9]
	v_fmac_f64_e32 v[14:15], v[28:29], v[12:13]
	v_fma_f64 v[28:29], -v[14:15], v[14:15], v[8:9]
	v_fmac_f64_e32 v[14:15], v[28:29], v[12:13]
	v_ldexp_f64 v[12:13], v[14:15], s29
	v_cndmask_b32_e32 v9, v13, v9, vcc
	v_cndmask_b32_e32 v8, v12, v8, vcc
	v_div_scale_f64 v[12:13], s[42:43], v[8:9], v[8:9], 1.0
	v_rcp_f64_e32 v[14:15], v[12:13]
	v_fma_f64 v[28:29], -v[12:13], v[14:15], 1.0
	v_fmac_f64_e32 v[14:15], v[14:15], v[28:29]
	v_fma_f64 v[28:29], -v[12:13], v[14:15], 1.0
	v_fmac_f64_e32 v[14:15], v[14:15], v[28:29]
	v_div_scale_f64 v[28:29], vcc, 1.0, v[8:9], 1.0
	v_mul_f64 v[30:31], v[28:29], v[14:15]
	v_fma_f64 v[12:13], -v[12:13], v[30:31], v[28:29]
	s_nop 1
	v_div_fmas_f64 v[12:13], v[12:13], v[14:15], v[30:31]
	v_div_fixup_f64 v[8:9], v[12:13], v[8:9], 1.0
	v_mul_f64 v[10:11], v[10:11], v[8:9]
.LBB20_113:                             ;   in Loop: Header=BB20_11 Depth=1
	v_mul_f64 v[12:13], v[4:5], v[8:9]
	v_fma_f64 v[6:7], v[6:7], v[10:11], -v[12:13]
	s_branch .LBB20_115
.LBB20_114:                             ;   in Loop: Header=BB20_11 Depth=1
	v_mov_b32_e32 v8, 0
	v_xor_b32_e32 v7, 0x80000000, v5
	v_mov_b32_e32 v6, v4
	v_pk_mov_b32 v[10:11], 0, 0
	v_mov_b32_e32 v9, 0x3ff00000
.LBB20_115:                             ;   in Loop: Header=BB20_11 Depth=1
	global_store_dwordx2 v2, v[6:7], s[14:15]
	global_load_dwordx2 v[12:13], v2, s[30:31] offset:-8
	s_nop 0
	global_load_dwordx2 v[6:7], v2, s[88:89] offset:-8
	s_cmp_eq_u32 s80, 2
	s_waitcnt vmcnt(1)
	v_mul_f64 v[14:15], v[10:11], v[12:13]
	s_waitcnt vmcnt(0)
	v_fmac_f64_e32 v[14:15], v[8:9], v[6:7]
	global_store_dwordx2 v2, v[14:15], s[30:31] offset:-8
	s_cbranch_scc1 .LBB20_117
; %bb.116:                              ;   in Loop: Header=BB20_11 Depth=1
	s_ashr_i32 s75, s74, 31
	s_lshl_b64 s[14:15], s[74:75], 3
	s_add_u32 s14, s88, s14
	s_addc_u32 s15, s89, s15
	global_load_dwordx2 v[14:15], v2, s[14:15] offset:-8
	s_waitcnt vmcnt(0)
	v_mul_f64 v[4:5], v[14:15], -v[8:9]
	v_mul_f64 v[14:15], v[10:11], v[14:15]
	global_store_dwordx2 v2, v[14:15], s[14:15] offset:-8
.LBB20_117:                             ;   in Loop: Header=BB20_11 Depth=1
	s_and_b64 s[30:31], s[36:37], s[38:39]
	v_cndmask_b32_e64 v3, 0, 1, s[30:31]
	v_cmp_ne_u32_e64 s[14:15], 1, v3
	s_andn2_b64 vcc, exec, s[30:31]
	s_cbranch_vccnz .LBB20_119
; %bb.118:                              ;   in Loop: Header=BB20_11 Depth=1
	s_add_u32 s30, s21, s84
	s_addc_u32 s31, s28, s85
	s_ashr_i32 s81, s80, 31
	s_lshl_b64 s[38:39], s[80:81], 3
	s_add_u32 s38, s30, s38
	s_addc_u32 s39, s31, s39
	global_store_dwordx2 v2, v[10:11], s[30:31] offset:-8
	global_store_dwordx2 v2, v[8:9], s[38:39] offset:-8
.LBB20_119:                             ;   in Loop: Header=BB20_11 Depth=1
	v_readlane_b32 s38, v36, 2
	s_xor_b64 s[30:31], s[76:77], -1
	v_readlane_b32 s39, v36, 3
	s_or_b64 s[30:31], s[38:39], s[30:31]
	s_and_b64 vcc, exec, s[30:31]
	s_cbranch_vccnz .LBB20_121
; %bb.120:                              ;   in Loop: Header=BB20_11 Depth=1
	s_ashr_i32 s29, s63, 31
	s_add_u32 s38, s82, s63
	s_addc_u32 s39, s83, s29
	s_lshl_b64 s[38:39], s[38:39], 3
	s_add_u32 s38, s21, s38
	s_addc_u32 s39, s28, s39
	s_ashr_i32 s81, s80, 31
	s_lshl_b64 s[28:29], s[80:81], 3
	s_add_u32 s28, s38, s28
	s_addc_u32 s29, s39, s29
	global_store_dwordx2 v2, v[10:11], s[38:39] offset:-8
	global_store_dwordx2 v2, v[8:9], s[28:29] offset:-8
.LBB20_121:                             ;   in Loop: Header=BB20_11 Depth=1
	v_mul_f64 v[8:9], v[8:9], v[12:13]
	v_fma_f64 v[6:7], v[10:11], v[6:7], -v[8:9]
	s_cmp_eq_u32 s62, 1
	s_mov_b32 s65, 0
	s_cbranch_scc1 .LBB20_154
; %bb.122:                              ;   in Loop: Header=BB20_11 Depth=1
	s_xor_b64 s[82:83], s[94:95], -1
	s_xor_b64 s[84:85], s[30:31], -1
	s_add_i32 s30, s86, s74
	s_add_i32 s65, s62, -1
	s_sub_i32 s28, s86, s78
	s_ashr_i32 s21, s63, 31
	s_ashr_i32 s81, s80, 31
	s_add_u32 s31, s92, s63
	s_addc_u32 s21, s93, s21
	s_ashr_i32 s29, s28, 31
	s_add_u32 s38, s31, s28
	s_addc_u32 s39, s21, s29
	s_lshl_b64 s[38:39], s[38:39], 3
	s_add_u32 s21, s38, s90
	s_addc_u32 s31, s39, s91
	s_lshl_b64 s[38:39], s[80:81], 3
	v_writelane_b32 v36, s79, 32
	s_add_u32 s42, s21, s38
	s_addc_u32 s43, s31, s39
	v_readlane_b32 s58, v36, 8
	s_add_u32 s75, s58, s42
	v_readlane_b32 s59, v36, 9
	s_addc_u32 s92, s59, s43
	s_lshl_b32 s42, s70, 1
	s_add_i32 s42, s42, -2
	s_ashr_i32 s43, s42, 31
	s_lshl_b64 s[80:81], s[42:43], 3
	s_or_b32 s80, s80, 8
	s_add_u32 s94, s58, s21
	s_addc_u32 s95, s59, s31
	s_lshl_b64 s[42:43], s[70:71], 4
	s_add_u32 s21, s42, s90
	s_addc_u32 s31, s43, s91
	s_lshl_b64 s[56:57], s[28:29], 3
	s_add_u32 s21, s21, s56
	s_addc_u32 s31, s31, s57
	s_add_u32 s38, s21, s38
	s_addc_u32 s39, s31, s39
	;; [unrolled: 2-line block ×4, first 2 shown]
	v_readlane_b32 s58, v36, 0
	v_readlane_b32 s59, v36, 1
	s_add_u32 s39, s58, s66
	s_addc_u32 s58, s59, s67
	s_add_u32 s28, s39, s28
	s_addc_u32 s29, s58, s29
	s_mul_i32 s38, s70, 24
	s_lshl_b64 s[28:29], s[28:29], 3
	s_mul_hi_i32 s31, s70, 24
	s_add_u32 s38, s38, s28
	s_addc_u32 s31, s31, s29
	s_ashr_i32 s79, s78, 31
	s_lshl_b64 s[28:29], s[78:79], 3
	s_sub_u32 s28, s38, s28
	s_subb_u32 s29, s31, s29
	v_readlane_b32 s31, v36, 14
	s_add_u32 s67, s31, s28
	v_readlane_b32 s28, v36, 16
	s_addc_u32 s28, s28, s29
	s_add_u32 s38, s42, s68
	s_addc_u32 s39, s43, s69
	s_add_u32 s29, s38, s56
	s_addc_u32 s31, s39, s57
	v_readlane_b32 s42, v36, 15
	s_add_u32 s29, s42, s29
	v_readlane_b32 s42, v36, 17
	s_addc_u32 s42, s42, s31
	s_add_u32 s31, s68, s56
	s_addc_u32 s56, s69, s57
	s_add_u32 s43, s44, s31
	s_addc_u32 s58, s50, s56
	s_ashr_i32 s31, s30, 31
	s_lshl_b64 s[30:31], s[30:31], 3
	s_add_u32 s38, s38, s30
	s_addc_u32 s39, s39, s31
	v_readlane_b32 s56, v36, 18
	s_add_u32 s59, s56, s38
	v_readlane_b32 s38, v36, 19
	s_addc_u32 s60, s38, s39
	s_add_u32 s30, s68, s30
	s_addc_u32 s31, s69, s31
	s_add_u32 s61, s22, s30
	s_mov_b32 s93, 1
	s_addc_u32 s56, s33, s31
	s_mov_b64 s[78:79], 0
	s_branch .LBB20_124
.LBB20_123:                             ;   in Loop: Header=BB20_124 Depth=2
	s_add_i32 s93, s93, 1
	s_add_u32 s78, s78, s80
	v_mul_f64 v[10:11], v[10:11], v[12:13]
	s_addc_u32 s79, s79, s81
	s_cmp_eq_u32 s62, s93
	v_fma_f64 v[6:7], v[8:9], v[6:7], -v[10:11]
	s_cbranch_scc1 .LBB20_155
.LBB20_124:                             ;   Parent Loop BB20_11 Depth=1
                                        ; =>  This Inner Loop Header: Depth=2
	v_cmp_eq_f64_e32 vcc, 0, v[4:5]
	v_pk_mov_b32 v[8:9], 0, 0
	s_cbranch_vccnz .LBB20_128
; %bb.125:                              ;   in Loop: Header=BB20_124 Depth=2
	v_cmp_neq_f64_e32 vcc, 0, v[6:7]
	s_cbranch_vccz .LBB20_129
; %bb.126:                              ;   in Loop: Header=BB20_124 Depth=2
	v_cmp_ngt_f64_e64 s[30:31], |v[4:5]|, |v[6:7]|
	s_and_b64 vcc, exec, s[30:31]
	s_cbranch_vccz .LBB20_130
; %bb.127:                              ;   in Loop: Header=BB20_124 Depth=2
	v_div_scale_f64 v[8:9], s[30:31], v[6:7], v[6:7], -v[4:5]
	v_rcp_f64_e32 v[10:11], v[8:9]
	v_div_scale_f64 v[12:13], vcc, -v[4:5], v[6:7], -v[4:5]
	v_fma_f64 v[14:15], -v[8:9], v[10:11], 1.0
	v_fmac_f64_e32 v[10:11], v[10:11], v[14:15]
	v_fma_f64 v[14:15], -v[8:9], v[10:11], 1.0
	v_fmac_f64_e32 v[10:11], v[10:11], v[14:15]
	v_mul_f64 v[14:15], v[12:13], v[10:11]
	v_fma_f64 v[8:9], -v[8:9], v[14:15], v[12:13]
	v_div_fmas_f64 v[8:9], v[8:9], v[10:11], v[14:15]
	v_div_fixup_f64 v[8:9], v[8:9], v[6:7], -v[4:5]
	v_fma_f64 v[10:11], v[8:9], v[8:9], 1.0
	v_cmp_gt_f64_e32 vcc, s[40:41], v[10:11]
	v_cndmask_b32_e64 v3, 0, 1, vcc
	v_lshlrev_b32_e32 v3, 8, v3
	v_ldexp_f64 v[10:11], v[10:11], v3
	v_rsq_f64_e32 v[12:13], v[10:11]
	s_and_b64 s[30:31], vcc, exec
	s_cselect_b32 s30, 0xffffff80, 0
	v_cmp_class_f64_e32 vcc, v[10:11], v25
	v_mul_f64 v[14:15], v[10:11], v[12:13]
	v_mul_f64 v[12:13], v[12:13], 0.5
	v_fma_f64 v[28:29], -v[12:13], v[14:15], 0.5
	v_fmac_f64_e32 v[14:15], v[14:15], v[28:29]
	v_fmac_f64_e32 v[12:13], v[12:13], v[28:29]
	v_fma_f64 v[28:29], -v[14:15], v[14:15], v[10:11]
	v_fmac_f64_e32 v[14:15], v[28:29], v[12:13]
	v_fma_f64 v[28:29], -v[14:15], v[14:15], v[10:11]
	v_fmac_f64_e32 v[14:15], v[28:29], v[12:13]
	v_ldexp_f64 v[12:13], v[14:15], s30
	v_cndmask_b32_e32 v11, v13, v11, vcc
	v_cndmask_b32_e32 v10, v12, v10, vcc
	v_div_scale_f64 v[12:13], s[30:31], v[10:11], v[10:11], 1.0
	v_rcp_f64_e32 v[14:15], v[12:13]
	v_fma_f64 v[28:29], -v[12:13], v[14:15], 1.0
	v_fmac_f64_e32 v[14:15], v[14:15], v[28:29]
	v_fma_f64 v[28:29], -v[12:13], v[14:15], 1.0
	v_fmac_f64_e32 v[14:15], v[14:15], v[28:29]
	v_div_scale_f64 v[28:29], vcc, 1.0, v[10:11], 1.0
	v_mul_f64 v[30:31], v[28:29], v[14:15]
	v_fma_f64 v[12:13], -v[12:13], v[30:31], v[28:29]
	s_nop 1
	v_div_fmas_f64 v[12:13], v[12:13], v[14:15], v[30:31]
	v_div_fixup_f64 v[10:11], v[12:13], v[10:11], 1.0
	v_mul_f64 v[8:9], v[8:9], v[10:11]
	s_cbranch_execz .LBB20_131
	s_branch .LBB20_132
.LBB20_128:                             ;   in Loop: Header=BB20_124 Depth=2
	v_mov_b32_e32 v10, 0
	v_mov_b32_e32 v11, 0x3ff00000
	s_branch .LBB20_134
.LBB20_129:                             ;   in Loop: Header=BB20_124 Depth=2
                                        ; implicit-def: $vgpr6_vgpr7
                                        ; implicit-def: $vgpr8_vgpr9
                                        ; implicit-def: $vgpr10_vgpr11
	s_cbranch_execnz .LBB20_133
	s_branch .LBB20_134
.LBB20_130:                             ;   in Loop: Header=BB20_124 Depth=2
                                        ; implicit-def: $vgpr8_vgpr9
                                        ; implicit-def: $vgpr10_vgpr11
.LBB20_131:                             ;   in Loop: Header=BB20_124 Depth=2
	v_div_scale_f64 v[8:9], s[30:31], v[4:5], v[4:5], -v[6:7]
	v_rcp_f64_e32 v[10:11], v[8:9]
	v_div_scale_f64 v[12:13], vcc, -v[6:7], v[4:5], -v[6:7]
	v_fma_f64 v[14:15], -v[8:9], v[10:11], 1.0
	v_fmac_f64_e32 v[10:11], v[10:11], v[14:15]
	v_fma_f64 v[14:15], -v[8:9], v[10:11], 1.0
	v_fmac_f64_e32 v[10:11], v[10:11], v[14:15]
	v_mul_f64 v[14:15], v[12:13], v[10:11]
	v_fma_f64 v[8:9], -v[8:9], v[14:15], v[12:13]
	v_div_fmas_f64 v[8:9], v[8:9], v[10:11], v[14:15]
	v_div_fixup_f64 v[10:11], v[8:9], v[4:5], -v[6:7]
	v_fma_f64 v[8:9], v[10:11], v[10:11], 1.0
	v_cmp_gt_f64_e32 vcc, s[40:41], v[8:9]
	v_cndmask_b32_e64 v3, 0, 1, vcc
	v_lshlrev_b32_e32 v3, 8, v3
	v_ldexp_f64 v[8:9], v[8:9], v3
	v_rsq_f64_e32 v[12:13], v[8:9]
	s_and_b64 s[30:31], vcc, exec
	s_cselect_b32 s30, 0xffffff80, 0
	v_cmp_class_f64_e32 vcc, v[8:9], v25
	v_mul_f64 v[14:15], v[8:9], v[12:13]
	v_mul_f64 v[12:13], v[12:13], 0.5
	v_fma_f64 v[28:29], -v[12:13], v[14:15], 0.5
	v_fmac_f64_e32 v[14:15], v[14:15], v[28:29]
	v_fmac_f64_e32 v[12:13], v[12:13], v[28:29]
	v_fma_f64 v[28:29], -v[14:15], v[14:15], v[8:9]
	v_fmac_f64_e32 v[14:15], v[28:29], v[12:13]
	v_fma_f64 v[28:29], -v[14:15], v[14:15], v[8:9]
	v_fmac_f64_e32 v[14:15], v[28:29], v[12:13]
	v_ldexp_f64 v[12:13], v[14:15], s30
	v_cndmask_b32_e32 v9, v13, v9, vcc
	v_cndmask_b32_e32 v8, v12, v8, vcc
	v_div_scale_f64 v[12:13], s[30:31], v[8:9], v[8:9], 1.0
	v_rcp_f64_e32 v[14:15], v[12:13]
	v_fma_f64 v[28:29], -v[12:13], v[14:15], 1.0
	v_fmac_f64_e32 v[14:15], v[14:15], v[28:29]
	v_fma_f64 v[28:29], -v[12:13], v[14:15], 1.0
	v_fmac_f64_e32 v[14:15], v[14:15], v[28:29]
	v_div_scale_f64 v[28:29], vcc, 1.0, v[8:9], 1.0
	v_mul_f64 v[30:31], v[28:29], v[14:15]
	v_fma_f64 v[12:13], -v[12:13], v[30:31], v[28:29]
	s_nop 1
	v_div_fmas_f64 v[12:13], v[12:13], v[14:15], v[30:31]
	v_div_fixup_f64 v[8:9], v[12:13], v[8:9], 1.0
	v_mul_f64 v[10:11], v[10:11], v[8:9]
.LBB20_132:                             ;   in Loop: Header=BB20_124 Depth=2
	v_mul_f64 v[12:13], v[4:5], v[8:9]
	v_fma_f64 v[6:7], v[6:7], v[10:11], -v[12:13]
	s_branch .LBB20_134
.LBB20_133:                             ;   in Loop: Header=BB20_124 Depth=2
	v_xor_b32_e32 v5, 0x80000000, v5
	v_mov_b32_e32 v8, 0
	v_pk_mov_b32 v[10:11], 0, 0
	v_mov_b32_e32 v9, 0x3ff00000
	v_pk_mov_b32 v[6:7], v[4:5], v[4:5] op_sel:[0,1]
.LBB20_134:                             ;   in Loop: Header=BB20_124 Depth=2
	s_add_u32 s30, s43, s78
	s_addc_u32 s31, s58, s79
	global_store_dwordx2 v2, v[6:7], s[30:31]
	s_add_u32 s30, s61, s78
	s_addc_u32 s31, s56, s79
	s_add_u32 s38, s29, s78
	s_addc_u32 s39, s42, s79
	global_load_dwordx2 v[6:7], v2, s[38:39]
	global_load_dwordx2 v[4:5], v2, s[30:31]
	s_add_u32 s86, s59, s78
	s_addc_u32 s87, s60, s79
	s_and_b64 vcc, exec, s[12:13]
	s_waitcnt vmcnt(1)
	v_mul_f64 v[12:13], v[10:11], v[6:7]
	s_waitcnt vmcnt(0)
	v_fmac_f64_e32 v[12:13], v[8:9], v[4:5]
	global_store_dwordx2 v2, v[12:13], s[38:39]
	global_load_dwordx2 v[12:13], v2, s[86:87]
	s_waitcnt vmcnt(0)
	v_mul_f64 v[14:15], v[10:11], v[12:13]
	global_store_dwordx2 v2, v[14:15], s[86:87]
	s_cbranch_vccnz .LBB20_136
; %bb.135:                              ;   in Loop: Header=BB20_124 Depth=2
	s_add_u32 s88, s91, s78
	s_addc_u32 s89, s21, s79
	s_add_u32 vcc_lo, s71, s78
	s_addc_u32 vcc_hi, s90, s79
	global_store_dwordx2 v2, v[10:11], s[88:89]
	global_store_dwordx2 v2, v[8:9], vcc
.LBB20_136:                             ;   in Loop: Header=BB20_124 Depth=2
	s_andn2_b64 vcc, exec, s[82:83]
	s_cbranch_vccnz .LBB20_138
; %bb.137:                              ;   in Loop: Header=BB20_124 Depth=2
	s_add_u32 s88, s94, s78
	s_addc_u32 s89, s95, s79
	s_add_u32 vcc_lo, s75, s78
	s_addc_u32 vcc_hi, s92, s79
	global_store_dwordx2 v2, v[10:11], s[88:89]
	global_store_dwordx2 v2, v[8:9], vcc
.LBB20_138:                             ;   in Loop: Header=BB20_124 Depth=2
	v_mul_f64 v[6:7], v[8:9], v[6:7]
	v_fma_f64 v[6:7], v[10:11], v[4:5], -v[6:7]
	v_mul_f64 v[4:5], v[12:13], -v[8:9]
	v_cmp_eq_f64_e32 vcc, 0, v[4:5]
	v_pk_mov_b32 v[10:11], 0, 0
	s_cbranch_vccnz .LBB20_142
; %bb.139:                              ;   in Loop: Header=BB20_124 Depth=2
	v_cmp_neq_f64_e32 vcc, 0, v[6:7]
	s_cbranch_vccz .LBB20_143
; %bb.140:                              ;   in Loop: Header=BB20_124 Depth=2
	v_cmp_ngt_f64_e64 s[88:89], |v[4:5]|, |v[6:7]|
	s_and_b64 vcc, exec, s[88:89]
	s_cbranch_vccz .LBB20_144
; %bb.141:                              ;   in Loop: Header=BB20_124 Depth=2
	v_div_scale_f64 v[8:9], s[88:89], v[6:7], v[6:7], -v[4:5]
	v_rcp_f64_e32 v[10:11], v[8:9]
	v_div_scale_f64 v[12:13], vcc, -v[4:5], v[6:7], -v[4:5]
	v_fma_f64 v[14:15], -v[8:9], v[10:11], 1.0
	v_fmac_f64_e32 v[10:11], v[10:11], v[14:15]
	v_fma_f64 v[14:15], -v[8:9], v[10:11], 1.0
	v_fmac_f64_e32 v[10:11], v[10:11], v[14:15]
	v_mul_f64 v[14:15], v[12:13], v[10:11]
	v_fma_f64 v[8:9], -v[8:9], v[14:15], v[12:13]
	v_div_fmas_f64 v[8:9], v[8:9], v[10:11], v[14:15]
	v_div_fixup_f64 v[10:11], v[8:9], v[6:7], -v[4:5]
	v_fma_f64 v[8:9], v[10:11], v[10:11], 1.0
	v_cmp_gt_f64_e32 vcc, s[40:41], v[8:9]
	v_cndmask_b32_e64 v3, 0, 1, vcc
	v_lshlrev_b32_e32 v3, 8, v3
	v_ldexp_f64 v[8:9], v[8:9], v3
	v_rsq_f64_e32 v[12:13], v[8:9]
	s_and_b64 s[88:89], vcc, exec
	s_cselect_b32 s57, 0xffffff80, 0
	v_cmp_class_f64_e32 vcc, v[8:9], v25
	v_mul_f64 v[14:15], v[8:9], v[12:13]
	v_mul_f64 v[12:13], v[12:13], 0.5
	v_fma_f64 v[28:29], -v[12:13], v[14:15], 0.5
	v_fmac_f64_e32 v[14:15], v[14:15], v[28:29]
	v_fmac_f64_e32 v[12:13], v[12:13], v[28:29]
	v_fma_f64 v[28:29], -v[14:15], v[14:15], v[8:9]
	v_fmac_f64_e32 v[14:15], v[28:29], v[12:13]
	v_fma_f64 v[28:29], -v[14:15], v[14:15], v[8:9]
	v_fmac_f64_e32 v[14:15], v[28:29], v[12:13]
	v_ldexp_f64 v[12:13], v[14:15], s57
	v_cndmask_b32_e32 v9, v13, v9, vcc
	v_cndmask_b32_e32 v8, v12, v8, vcc
	v_div_scale_f64 v[12:13], s[88:89], v[8:9], v[8:9], 1.0
	v_rcp_f64_e32 v[14:15], v[12:13]
	v_fma_f64 v[28:29], -v[12:13], v[14:15], 1.0
	v_fmac_f64_e32 v[14:15], v[14:15], v[28:29]
	v_fma_f64 v[28:29], -v[12:13], v[14:15], 1.0
	v_fmac_f64_e32 v[14:15], v[14:15], v[28:29]
	v_div_scale_f64 v[28:29], vcc, 1.0, v[8:9], 1.0
	v_mul_f64 v[30:31], v[28:29], v[14:15]
	v_fma_f64 v[12:13], -v[12:13], v[30:31], v[28:29]
	s_nop 1
	v_div_fmas_f64 v[12:13], v[12:13], v[14:15], v[30:31]
	v_div_fixup_f64 v[8:9], v[12:13], v[8:9], 1.0
	v_mul_f64 v[10:11], v[10:11], v[8:9]
	s_cbranch_execz .LBB20_145
	s_branch .LBB20_146
.LBB20_142:                             ;   in Loop: Header=BB20_124 Depth=2
	v_mov_b32_e32 v8, 0
	v_mov_b32_e32 v9, 0x3ff00000
	s_branch .LBB20_148
.LBB20_143:                             ;   in Loop: Header=BB20_124 Depth=2
                                        ; implicit-def: $vgpr6_vgpr7
                                        ; implicit-def: $vgpr10_vgpr11
                                        ; implicit-def: $vgpr8_vgpr9
	s_cbranch_execnz .LBB20_147
	s_branch .LBB20_148
.LBB20_144:                             ;   in Loop: Header=BB20_124 Depth=2
                                        ; implicit-def: $vgpr10_vgpr11
                                        ; implicit-def: $vgpr8_vgpr9
.LBB20_145:                             ;   in Loop: Header=BB20_124 Depth=2
	v_div_scale_f64 v[8:9], s[88:89], v[4:5], v[4:5], -v[6:7]
	v_rcp_f64_e32 v[10:11], v[8:9]
	v_div_scale_f64 v[12:13], vcc, -v[6:7], v[4:5], -v[6:7]
	v_fma_f64 v[14:15], -v[8:9], v[10:11], 1.0
	v_fmac_f64_e32 v[10:11], v[10:11], v[14:15]
	v_fma_f64 v[14:15], -v[8:9], v[10:11], 1.0
	v_fmac_f64_e32 v[10:11], v[10:11], v[14:15]
	v_mul_f64 v[14:15], v[12:13], v[10:11]
	v_fma_f64 v[8:9], -v[8:9], v[14:15], v[12:13]
	v_div_fmas_f64 v[8:9], v[8:9], v[10:11], v[14:15]
	v_div_fixup_f64 v[8:9], v[8:9], v[4:5], -v[6:7]
	v_fma_f64 v[10:11], v[8:9], v[8:9], 1.0
	v_cmp_gt_f64_e32 vcc, s[40:41], v[10:11]
	v_cndmask_b32_e64 v3, 0, 1, vcc
	v_lshlrev_b32_e32 v3, 8, v3
	v_ldexp_f64 v[10:11], v[10:11], v3
	v_rsq_f64_e32 v[12:13], v[10:11]
	s_and_b64 s[88:89], vcc, exec
	s_cselect_b32 s57, 0xffffff80, 0
	v_cmp_class_f64_e32 vcc, v[10:11], v25
	v_mul_f64 v[14:15], v[10:11], v[12:13]
	v_mul_f64 v[12:13], v[12:13], 0.5
	v_fma_f64 v[28:29], -v[12:13], v[14:15], 0.5
	v_fmac_f64_e32 v[14:15], v[14:15], v[28:29]
	v_fmac_f64_e32 v[12:13], v[12:13], v[28:29]
	v_fma_f64 v[28:29], -v[14:15], v[14:15], v[10:11]
	v_fmac_f64_e32 v[14:15], v[28:29], v[12:13]
	v_fma_f64 v[28:29], -v[14:15], v[14:15], v[10:11]
	v_fmac_f64_e32 v[14:15], v[28:29], v[12:13]
	v_ldexp_f64 v[12:13], v[14:15], s57
	v_cndmask_b32_e32 v11, v13, v11, vcc
	v_cndmask_b32_e32 v10, v12, v10, vcc
	v_div_scale_f64 v[12:13], s[88:89], v[10:11], v[10:11], 1.0
	v_rcp_f64_e32 v[14:15], v[12:13]
	v_fma_f64 v[28:29], -v[12:13], v[14:15], 1.0
	v_fmac_f64_e32 v[14:15], v[14:15], v[28:29]
	v_fma_f64 v[28:29], -v[12:13], v[14:15], 1.0
	v_fmac_f64_e32 v[14:15], v[14:15], v[28:29]
	v_div_scale_f64 v[28:29], vcc, 1.0, v[10:11], 1.0
	v_mul_f64 v[30:31], v[28:29], v[14:15]
	v_fma_f64 v[12:13], -v[12:13], v[30:31], v[28:29]
	s_nop 1
	v_div_fmas_f64 v[12:13], v[12:13], v[14:15], v[30:31]
	v_div_fixup_f64 v[10:11], v[12:13], v[10:11], 1.0
	v_mul_f64 v[8:9], v[8:9], v[10:11]
.LBB20_146:                             ;   in Loop: Header=BB20_124 Depth=2
	v_mul_f64 v[12:13], v[4:5], v[10:11]
	v_fma_f64 v[6:7], v[6:7], v[8:9], -v[12:13]
	s_branch .LBB20_148
.LBB20_147:                             ;   in Loop: Header=BB20_124 Depth=2
	v_mov_b32_e32 v10, 0
	v_xor_b32_e32 v7, 0x80000000, v5
	v_mov_b32_e32 v6, v4
	v_pk_mov_b32 v[8:9], 0, 0
	v_mov_b32_e32 v11, 0x3ff00000
.LBB20_148:                             ;   in Loop: Header=BB20_124 Depth=2
	global_store_dwordx2 v2, v[6:7], s[30:31]
	global_load_dwordx2 v[12:13], v2, s[86:87]
	s_nop 0
	global_load_dwordx2 v[6:7], v2, s[38:39]
	s_cmp_ge_i32 s93, s65
	s_waitcnt vmcnt(1)
	v_mul_f64 v[14:15], v[8:9], v[12:13]
	s_waitcnt vmcnt(0)
	v_fmac_f64_e32 v[14:15], v[10:11], v[6:7]
	global_store_dwordx2 v2, v[14:15], s[86:87]
	s_cbranch_scc0 .LBB20_151
; %bb.149:                              ;   in Loop: Header=BB20_124 Depth=2
	s_and_b64 vcc, exec, s[14:15]
	s_cbranch_vccz .LBB20_152
.LBB20_150:                             ;   in Loop: Header=BB20_124 Depth=2
	s_andn2_b64 vcc, exec, s[84:85]
	s_cbranch_vccnz .LBB20_123
	s_branch .LBB20_153
.LBB20_151:                             ;   in Loop: Header=BB20_124 Depth=2
	s_add_u32 s30, s67, s78
	s_addc_u32 s31, s28, s79
	global_load_dwordx2 v[14:15], v2, s[30:31]
	s_waitcnt vmcnt(0)
	v_mul_f64 v[4:5], v[14:15], -v[10:11]
	v_mul_f64 v[14:15], v[8:9], v[14:15]
	global_store_dwordx2 v2, v[14:15], s[30:31]
	s_and_b64 vcc, exec, s[14:15]
	s_cbranch_vccnz .LBB20_150
.LBB20_152:                             ;   in Loop: Header=BB20_124 Depth=2
	s_add_u32 s30, s91, s78
	s_addc_u32 s31, s21, s79
	s_add_u32 s38, s71, s78
	s_addc_u32 s39, s90, s79
	global_store_dwordx2 v2, v[8:9], s[30:31]
	global_store_dwordx2 v2, v[10:11], s[38:39]
	s_andn2_b64 vcc, exec, s[84:85]
	s_cbranch_vccnz .LBB20_123
.LBB20_153:                             ;   in Loop: Header=BB20_124 Depth=2
	s_add_u32 s30, s94, s78
	s_addc_u32 s31, s95, s79
	s_add_u32 s38, s75, s78
	s_addc_u32 s39, s92, s79
	global_store_dwordx2 v2, v[8:9], s[30:31]
	global_store_dwordx2 v2, v[10:11], s[38:39]
	s_branch .LBB20_123
.LBB20_154:                             ;   in Loop: Header=BB20_11 Depth=1
	v_readlane_b32 s12, v36, 24
	v_readlane_b32 s13, v36, 25
	;; [unrolled: 1-line block ×3, first 2 shown]
	s_mov_b32 s75, s13
	v_readlane_b32 s83, v36, 23
	s_branch .LBB20_156
.LBB20_155:                             ;   in Loop: Header=BB20_11 Depth=1
	v_readlane_b32 s12, v36, 24
	v_readlane_b32 s13, v36, 25
	;; [unrolled: 1-line block ×3, first 2 shown]
	s_mov_b32 s75, s13
	v_readlane_b32 s83, v36, 23
	v_readlane_b32 s79, v36, 32
.LBB20_156:                             ;   in Loop: Header=BB20_11 Depth=1
	v_readlane_b32 s90, v36, 26
	v_readlane_b32 s92, v36, 28
	;; [unrolled: 1-line block ×6, first 2 shown]
.LBB20_157:                             ;   in Loop: Header=BB20_11 Depth=1
	s_and_b64 s[12:13], s[76:77], exec
	s_cselect_b32 s12, s65, 0
	s_ashr_i32 s13, s12, 31
	s_lshl_b64 s[12:13], s[12:13], 3
	s_add_u32 s10, s10, s12
	s_addc_u32 s11, s11, s13
	global_store_dwordx2 v2, v[6:7], s[10:11]
.LBB20_158:                             ;   in Loop: Header=BB20_11 Depth=1
	s_or_b64 exec, exec, s[4:5]
	s_andn2_b64 vcc, exec, s[82:83]
	s_barrier
	s_cbranch_vccnz .LBB20_166
; %bb.159:                              ;   in Loop: Header=BB20_11 Depth=1
	s_mov_b32 s59, s79
	s_and_saveexec_b64 s[12:13], s[90:91]
	s_cbranch_execz .LBB20_165
; %bb.160:                              ;   in Loop: Header=BB20_11 Depth=1
	s_load_dword s5, s[92:93], 0xc
	s_add_u32 s10, s48, s68
	s_addc_u32 s11, s49, s69
	s_add_i32 s4, s62, -1
	s_cmp_eq_u32 s70, 0
	s_cselect_b32 s21, s62, 0
	s_cselect_b32 s4, s4, 0
	s_cmp_gt_i32 s62, 0
	s_cselect_b64 s[14:15], -1, 0
	s_waitcnt lgkmcnt(0)
	s_and_b32 s28, s5, 0xffff
	s_ashr_i32 s5, s4, 31
	s_lshl_b64 s[4:5], s[4:5], 3
	s_lshl_b64 s[30:31], s[72:73], 3
	s_add_u32 s43, s4, s30
	s_addc_u32 s56, s5, s31
	s_add_u32 s29, s18, s43
	s_addc_u32 s42, s19, s56
	s_lshl_b32 s58, s70, 1
	s_add_i32 s30, s58, -2
	s_ashr_i32 s31, s30, 31
	s_lshl_b64 s[38:39], s[30:31], 3
	s_ashr_i32 s65, s64, 31
	s_or_b32 s38, s38, 8
	s_lshl_b64 s[4:5], s[64:65], 3
	s_add_u32 s4, s43, s4
	s_addc_u32 s5, s56, s5
	s_sub_u32 s4, s4, s68
	s_subb_u32 s5, s5, s69
	v_readlane_b32 s43, v36, 20
	s_add_u32 s43, s43, s4
	v_readlane_b32 s4, v36, 21
	s_addc_u32 s56, s4, s5
	s_add_i32 s58, s58, s21
	v_add_u32_e32 v4, s21, v21
	s_mul_i32 s57, s23, s28
	s_not_b64 s[76:77], s[30:31]
	v_add_u32_e32 v6, s58, v22
	s_or_b32 s30, s30, 1
	s_mov_b64 s[78:79], 0
	v_mov_b32_e32 v3, v0
	s_branch .LBB20_162
.LBB20_161:                             ;   in Loop: Header=BB20_162 Depth=2
	v_lshlrev_b64 v[10:11], 3, v[10:11]
	v_mov_b32_e32 v5, s11
	v_add_co_u32_e32 v10, vcc, s10, v10
	v_addc_co_u32_e32 v11, vcc, v5, v11, vcc
	v_add_u32_e32 v3, s28, v3
	v_cmp_le_i32_e32 vcc, s45, v3
	v_add_u32_e32 v4, s57, v4
	s_or_b64 s[78:79], vcc, s[78:79]
	v_add_u32_e32 v6, s57, v6
	s_waitcnt vmcnt(0) lgkmcnt(0)
	flat_store_dwordx2 v[10:11], v[8:9]
	s_andn2_b64 exec, exec, s[78:79]
	s_cbranch_execz .LBB20_165
.LBB20_162:                             ;   Parent Loop BB20_11 Depth=1
                                        ; =>  This Loop Header: Depth=2
                                        ;       Child Loop BB20_164 Depth 3
	v_mul_lo_u32 v5, v3, s23
	v_add_u32_e32 v10, s21, v5
	v_ashrrev_i32_e32 v11, 31, v10
	v_lshlrev_b64 v[8:9], 3, v[10:11]
	v_mov_b32_e32 v5, s11
	v_add_co_u32_e32 v8, vcc, s10, v8
	v_addc_co_u32_e32 v9, vcc, v5, v9, vcc
	flat_load_dwordx2 v[8:9], v[8:9]
	s_andn2_b64 vcc, exec, s[14:15]
	s_cbranch_vccnz .LBB20_161
; %bb.163:                              ;   in Loop: Header=BB20_162 Depth=2
	v_ashrrev_i32_e32 v5, 31, v4
	v_lshlrev_b64 v[10:11], 3, v[4:5]
	v_mov_b32_e32 v13, s11
	v_add_co_u32_e32 v5, vcc, s10, v10
	v_addc_co_u32_e32 v12, vcc, v13, v11, vcc
	v_ashrrev_i32_e32 v7, 31, v6
	v_mov_b32_e32 v11, s77
	v_add_co_u32_e32 v10, vcc, s76, v6
	v_addc_co_u32_e32 v11, vcc, v11, v7, vcc
	v_lshlrev_b64 v[14:15], 3, v[6:7]
	v_add_co_u32_e32 v7, vcc, s10, v14
	v_addc_co_u32_e32 v13, vcc, v13, v15, vcc
	s_mov_b64 s[80:81], 0
	s_mov_b32 s58, s62
.LBB20_164:                             ;   Parent Loop BB20_11 Depth=1
                                        ;     Parent Loop BB20_162 Depth=2
                                        ; =>    This Inner Loop Header: Depth=3
	s_add_u32 s4, s29, s80
	v_mov_b32_e32 v27, s81
	v_add_co_u32_e32 v14, vcc, s80, v7
	s_addc_u32 s5, s42, s81
	v_addc_co_u32_e32 v15, vcc, v13, v27, vcc
	s_add_u32 s60, s43, s80
	flat_load_dwordx2 v[14:15], v[14:15]
	s_addc_u32 s61, s56, s81
	global_load_dwordx2 v[28:29], v2, s[60:61]
	global_load_dwordx2 v[30:31], v2, s[4:5] offset:32
	v_mov_b32_e32 v34, s31
	v_add_co_u32_e32 v10, vcc, s30, v10
	s_add_i32 s58, s58, -1
	v_add_co_u32_e64 v32, s[4:5], s80, v5
	v_addc_co_u32_e32 v11, vcc, v11, v34, vcc
	s_add_u32 s80, s80, s38
	s_addc_u32 s81, s81, s39
	v_addc_co_u32_e64 v33, s[4:5], v12, v27, s[4:5]
	s_cmp_eq_u32 s58, 0
	s_waitcnt vmcnt(0) lgkmcnt(0)
	v_mul_f64 v[34:35], v[14:15], v[28:29]
	v_fma_f64 v[34:35], v[8:9], v[30:31], -v[34:35]
	v_mul_f64 v[8:9], v[8:9], v[28:29]
	v_fmac_f64_e32 v[8:9], v[14:15], v[30:31]
	flat_store_dwordx2 v[32:33], v[34:35]
	s_cbranch_scc0 .LBB20_164
	s_branch .LBB20_161
.LBB20_165:                             ;   in Loop: Header=BB20_11 Depth=1
	s_or_b64 exec, exec, s[12:13]
	s_mov_b32 s79, s59
.LBB20_166:                             ;   in Loop: Header=BB20_11 Depth=1
	s_andn2_b64 vcc, exec, s[94:95]
	s_cbranch_vccnz .LBB20_174
; %bb.167:                              ;   in Loop: Header=BB20_11 Depth=1
	s_mov_b64 s[4:5], exec
	v_readlane_b32 s10, v36, 4
	v_readlane_b32 s11, v36, 5
	s_and_b64 s[10:11], s[4:5], s[10:11]
	s_mov_b64 exec, s[10:11]
	s_cbranch_execz .LBB20_173
; %bb.168:                              ;   in Loop: Header=BB20_11 Depth=1
	s_mul_i32 s10, s66, s75
	s_ashr_i32 s11, s10, 31
	s_lshl_b64 s[10:11], s[10:11], 3
	s_add_u32 s10, s34, s10
	s_addc_u32 s11, s35, s11
	s_add_i32 s12, s62, -1
	s_load_dword s15, s[92:93], 0xc
	s_cmp_eq_u32 s70, 0
	s_cselect_b32 s12, s12, 0
	s_cselect_b32 s56, s62, 0
	s_add_i32 s14, s12, s63
	s_cmp_gt_i32 s62, 0
	s_cselect_b64 s[12:13], -1, 0
	s_waitcnt lgkmcnt(0)
	s_and_b32 s28, s15, 0xffff
	s_ashr_i32 s15, s14, 31
	s_lshl_b64 s[30:31], s[72:73], 3
	s_lshl_b64 s[14:15], s[14:15], 3
	s_add_u32 s14, s30, s14
	s_addc_u32 s15, s31, s15
	s_add_u32 s14, s18, s14
	s_addc_u32 s15, s19, s15
	s_lshl_b32 s57, s70, 1
	s_add_i32 s30, s57, -2
	s_ashr_i32 s31, s30, 31
	s_lshl_b64 s[30:31], s[30:31], 3
	s_ashr_i32 s65, s64, 31
	s_or_b32 s30, s30, 8
	s_lshl_b64 s[38:39], s[64:65], 3
	s_sub_u32 s29, s38, s68
	s_subb_u32 s38, s39, s69
	s_add_u32 s29, s29, 40
	s_addc_u32 s42, s38, 0
	s_add_i32 s38, s56, s57
	s_add_i32 s38, s38, -1
	s_mul_i32 s21, s56, s75
	s_mul_i32 s38, s75, s38
	v_add_u32_e32 v3, s21, v0
	s_mul_i32 s43, s75, s74
	v_add_u32_e32 v8, s38, v0
	s_mov_b64 s[38:39], 0
	v_mov_b32_e32 v9, v0
	s_branch .LBB20_170
.LBB20_169:                             ;   in Loop: Header=BB20_170 Depth=2
	v_lshlrev_b64 v[6:7], 3, v[6:7]
	v_mov_b32_e32 v10, s11
	v_add_co_u32_e32 v6, vcc, s10, v6
	v_addc_co_u32_e32 v7, vcc, v10, v7, vcc
	v_add_u32_e32 v9, s28, v9
	v_cmp_le_i32_e32 vcc, s46, v9
	v_add_u32_e32 v3, s28, v3
	s_or_b64 s[38:39], vcc, s[38:39]
	v_add_u32_e32 v8, s28, v8
	s_waitcnt vmcnt(0) lgkmcnt(0)
	flat_store_dwordx2 v[6:7], v[4:5]
	s_andn2_b64 exec, exec, s[38:39]
	s_cbranch_execz .LBB20_173
.LBB20_170:                             ;   Parent Loop BB20_11 Depth=1
                                        ; =>  This Loop Header: Depth=2
                                        ;       Child Loop BB20_172 Depth 3
	v_add_u32_e32 v6, s21, v9
	v_ashrrev_i32_e32 v7, 31, v6
	v_lshlrev_b64 v[4:5], 3, v[6:7]
	v_mov_b32_e32 v10, s11
	v_add_co_u32_e32 v4, vcc, s10, v4
	v_addc_co_u32_e32 v5, vcc, v10, v5, vcc
	flat_load_dwordx2 v[4:5], v[4:5]
	s_andn2_b64 vcc, exec, s[12:13]
	s_cbranch_vccnz .LBB20_169
; %bb.171:                              ;   in Loop: Header=BB20_170 Depth=2
	s_mov_b32 s56, 0
	s_mov_b64 s[66:67], s[14:15]
	s_mov_b32 s57, s62
.LBB20_172:                             ;   Parent Loop BB20_11 Depth=1
                                        ;     Parent Loop BB20_170 Depth=2
                                        ; =>    This Inner Loop Header: Depth=3
	v_add_u32_e32 v6, s56, v8
	v_ashrrev_i32_e32 v7, 31, v6
	s_add_u32 s58, s66, s29
	v_lshlrev_b64 v[10:11], 3, v[6:7]
	v_mov_b32_e32 v27, s11
	s_addc_u32 s59, s67, s42
	v_add_co_u32_e32 v10, vcc, s10, v10
	global_load_dwordx2 v[12:13], v2, s[58:59]
	v_addc_co_u32_e32 v11, vcc, v27, v11, vcc
	flat_load_dwordx2 v[10:11], v[10:11]
	s_nop 0
	global_load_dwordx2 v[14:15], v2, s[66:67] offset:32
	v_add_u32_e32 v28, s56, v3
	v_ashrrev_i32_e32 v29, 31, v28
	s_add_i32 s57, s57, -1
	v_lshlrev_b64 v[28:29], 3, v[28:29]
	s_add_u32 s66, s66, s30
	s_addc_u32 s67, s67, s31
	s_add_i32 s56, s56, s43
	v_add_co_u32_e32 v28, vcc, s10, v28
	v_addc_co_u32_e32 v29, vcc, v27, v29, vcc
	s_cmp_eq_u32 s57, 0
	s_waitcnt vmcnt(0) lgkmcnt(0)
	v_mul_f64 v[30:31], v[10:11], v[12:13]
	v_fma_f64 v[30:31], v[4:5], v[14:15], -v[30:31]
	v_mul_f64 v[4:5], v[4:5], v[12:13]
	v_fmac_f64_e32 v[4:5], v[10:11], v[14:15]
	flat_store_dwordx2 v[28:29], v[30:31]
	s_cbranch_scc0 .LBB20_172
	s_branch .LBB20_169
.LBB20_173:                             ;   in Loop: Header=BB20_11 Depth=1
	s_or_b64 exec, exec, s[4:5]
.LBB20_174:                             ;   in Loop: Header=BB20_11 Depth=1
	v_readlane_b32 s4, v36, 6
	v_readlane_b32 s5, v36, 7
	s_andn2_b64 vcc, exec, s[4:5]
	s_cbranch_vccnz .LBB20_10
; %bb.175:                              ;   in Loop: Header=BB20_11 Depth=1
	s_mov_b64 s[12:13], exec
	v_readlane_b32 s4, v36, 10
	v_readlane_b32 s5, v36, 11
	s_and_b64 s[4:5], s[12:13], s[4:5]
	s_mov_b64 exec, s[4:5]
	s_cbranch_execz .LBB20_9
; %bb.176:                              ;   in Loop: Header=BB20_11 Depth=1
	s_add_u32 s10, s52, s68
	s_addc_u32 s11, s53, s69
	s_add_i32 s4, s62, -1
	s_load_dword s5, s[92:93], 0xc
	s_cmp_eq_u32 s70, 0
	s_cselect_b32 s4, s4, 0
	s_cselect_b32 s21, s62, 0
	s_add_i32 s4, s4, s63
	s_cmp_gt_i32 s62, 0
	s_cselect_b64 s[14:15], -1, 0
	s_waitcnt lgkmcnt(0)
	s_and_b32 s28, s5, 0xffff
	s_ashr_i32 s5, s4, 31
	s_lshl_b64 s[30:31], s[72:73], 3
	s_lshl_b64 s[4:5], s[4:5], 3
	s_add_u32 s43, s30, s4
	s_addc_u32 s56, s31, s5
	s_add_u32 s29, s18, s43
	s_addc_u32 s42, s19, s56
	s_lshl_b32 s58, s70, 1
	s_add_i32 s30, s58, -2
	s_ashr_i32 s31, s30, 31
	s_lshl_b64 s[38:39], s[30:31], 3
	s_ashr_i32 s65, s64, 31
	s_or_b32 s38, s38, 8
	s_lshl_b64 s[4:5], s[64:65], 3
	s_add_u32 s4, s43, s4
	s_addc_u32 s5, s56, s5
	s_sub_u32 s4, s4, s68
	s_subb_u32 s5, s5, s69
	v_readlane_b32 s43, v36, 20
	s_add_u32 s43, s43, s4
	v_readlane_b32 s4, v36, 21
	s_addc_u32 s56, s4, s5
	s_add_i32 s58, s58, s21
	v_add_u32_e32 v4, s21, v23
	s_mul_i32 s57, s51, s28
	s_not_b64 s[64:65], s[30:31]
	v_add_u32_e32 v6, s58, v24
	s_or_b32 s30, s30, 1
	s_mov_b64 s[66:67], 0
	v_mov_b32_e32 v3, v0
	s_branch .LBB20_178
.LBB20_177:                             ;   in Loop: Header=BB20_178 Depth=2
	v_lshlrev_b64 v[10:11], 3, v[10:11]
	v_mov_b32_e32 v5, s11
	v_add_co_u32_e32 v10, vcc, s10, v10
	v_addc_co_u32_e32 v11, vcc, v5, v11, vcc
	v_add_u32_e32 v3, s28, v3
	v_cmp_le_i32_e32 vcc, s47, v3
	v_add_u32_e32 v4, s57, v4
	s_or_b64 s[66:67], vcc, s[66:67]
	v_add_u32_e32 v6, s57, v6
	s_waitcnt vmcnt(0) lgkmcnt(0)
	flat_store_dwordx2 v[10:11], v[8:9]
	s_andn2_b64 exec, exec, s[66:67]
	s_cbranch_execz .LBB20_9
.LBB20_178:                             ;   Parent Loop BB20_11 Depth=1
                                        ; =>  This Loop Header: Depth=2
                                        ;       Child Loop BB20_180 Depth 3
	v_mul_lo_u32 v5, v3, s51
	v_add_u32_e32 v10, s21, v5
	v_ashrrev_i32_e32 v11, 31, v10
	v_lshlrev_b64 v[8:9], 3, v[10:11]
	v_mov_b32_e32 v5, s11
	v_add_co_u32_e32 v8, vcc, s10, v8
	v_addc_co_u32_e32 v9, vcc, v5, v9, vcc
	flat_load_dwordx2 v[8:9], v[8:9]
	s_andn2_b64 vcc, exec, s[14:15]
	s_cbranch_vccnz .LBB20_177
; %bb.179:                              ;   in Loop: Header=BB20_178 Depth=2
	v_ashrrev_i32_e32 v5, 31, v4
	v_lshlrev_b64 v[10:11], 3, v[4:5]
	v_mov_b32_e32 v13, s11
	v_add_co_u32_e32 v5, vcc, s10, v10
	v_addc_co_u32_e32 v12, vcc, v13, v11, vcc
	v_ashrrev_i32_e32 v7, 31, v6
	v_mov_b32_e32 v11, s65
	v_add_co_u32_e32 v10, vcc, s64, v6
	v_addc_co_u32_e32 v11, vcc, v11, v7, vcc
	v_lshlrev_b64 v[14:15], 3, v[6:7]
	v_add_co_u32_e32 v7, vcc, s10, v14
	v_addc_co_u32_e32 v13, vcc, v13, v15, vcc
	s_mov_b64 s[68:69], 0
	s_mov_b32 s58, s62
.LBB20_180:                             ;   Parent Loop BB20_11 Depth=1
                                        ;     Parent Loop BB20_178 Depth=2
                                        ; =>    This Inner Loop Header: Depth=3
	s_add_u32 s4, s29, s68
	s_addc_u32 s5, s42, s69
	v_mov_b32_e32 v27, s69
	v_add_co_u32_e32 v14, vcc, s68, v7
	s_add_u32 s60, s43, s68
	v_addc_co_u32_e32 v15, vcc, v13, v27, vcc
	s_addc_u32 s61, s56, s69
	flat_load_dwordx2 v[14:15], v[14:15]
	v_mov_b32_e32 v34, s31
	global_load_dwordx2 v[28:29], v2, s[4:5] offset:32
	global_load_dwordx2 v[30:31], v2, s[60:61]
	v_add_co_u32_e32 v10, vcc, s30, v10
	s_add_i32 s58, s58, -1
	v_add_co_u32_e64 v32, s[4:5], s68, v5
	v_addc_co_u32_e32 v11, vcc, v11, v34, vcc
	s_add_u32 s68, s68, s38
	s_addc_u32 s69, s69, s39
	v_addc_co_u32_e64 v33, s[4:5], v12, v27, s[4:5]
	s_cmp_eq_u32 s58, 0
	s_waitcnt vmcnt(0) lgkmcnt(0)
	v_mul_f64 v[34:35], v[14:15], v[30:31]
	v_fma_f64 v[34:35], v[8:9], v[28:29], -v[34:35]
	v_mul_f64 v[8:9], v[8:9], v[30:31]
	v_fmac_f64_e32 v[8:9], v[14:15], v[28:29]
	flat_store_dwordx2 v[32:33], v[34:35]
	s_cbranch_scc0 .LBB20_180
	s_branch .LBB20_177
.LBB20_181:
	s_endpgm
	.section	.rodata,"a",@progbits
	.p2align	6, 0x0
	.amdhsa_kernel _ZN9rocsolver6v33100L13bdsqr_computeILi256EddPdS2_S2_EEviiiiPT1_lS4_lT2_iilT3_iilT4_iiliS3_S3_S3_S3_PiS4_ilS8_
		.amdhsa_group_segment_fixed_size 2072
		.amdhsa_private_segment_fixed_size 0
		.amdhsa_kernarg_size 456
		.amdhsa_user_sgpr_count 6
		.amdhsa_user_sgpr_private_segment_buffer 1
		.amdhsa_user_sgpr_dispatch_ptr 0
		.amdhsa_user_sgpr_queue_ptr 0
		.amdhsa_user_sgpr_kernarg_segment_ptr 1
		.amdhsa_user_sgpr_dispatch_id 0
		.amdhsa_user_sgpr_flat_scratch_init 0
		.amdhsa_user_sgpr_kernarg_preload_length 0
		.amdhsa_user_sgpr_kernarg_preload_offset 0
		.amdhsa_user_sgpr_private_segment_size 0
		.amdhsa_uses_dynamic_stack 0
		.amdhsa_system_sgpr_private_segment_wavefront_offset 0
		.amdhsa_system_sgpr_workgroup_id_x 1
		.amdhsa_system_sgpr_workgroup_id_y 1
		.amdhsa_system_sgpr_workgroup_id_z 1
		.amdhsa_system_sgpr_workgroup_info 0
		.amdhsa_system_vgpr_workitem_id 0
		.amdhsa_next_free_vgpr 37
		.amdhsa_next_free_sgpr 96
		.amdhsa_accum_offset 40
		.amdhsa_reserve_vcc 1
		.amdhsa_reserve_flat_scratch 0
		.amdhsa_float_round_mode_32 0
		.amdhsa_float_round_mode_16_64 0
		.amdhsa_float_denorm_mode_32 3
		.amdhsa_float_denorm_mode_16_64 3
		.amdhsa_dx10_clamp 1
		.amdhsa_ieee_mode 1
		.amdhsa_fp16_overflow 0
		.amdhsa_tg_split 0
		.amdhsa_exception_fp_ieee_invalid_op 0
		.amdhsa_exception_fp_denorm_src 0
		.amdhsa_exception_fp_ieee_div_zero 0
		.amdhsa_exception_fp_ieee_overflow 0
		.amdhsa_exception_fp_ieee_underflow 0
		.amdhsa_exception_fp_ieee_inexact 0
		.amdhsa_exception_int_div_zero 0
	.end_amdhsa_kernel
	.section	.text._ZN9rocsolver6v33100L13bdsqr_computeILi256EddPdS2_S2_EEviiiiPT1_lS4_lT2_iilT3_iilT4_iiliS3_S3_S3_S3_PiS4_ilS8_,"axG",@progbits,_ZN9rocsolver6v33100L13bdsqr_computeILi256EddPdS2_S2_EEviiiiPT1_lS4_lT2_iilT3_iilT4_iiliS3_S3_S3_S3_PiS4_ilS8_,comdat
.Lfunc_end20:
	.size	_ZN9rocsolver6v33100L13bdsqr_computeILi256EddPdS2_S2_EEviiiiPT1_lS4_lT2_iilT3_iilT4_iiliS3_S3_S3_S3_PiS4_ilS8_, .Lfunc_end20-_ZN9rocsolver6v33100L13bdsqr_computeILi256EddPdS2_S2_EEviiiiPT1_lS4_lT2_iilT3_iilT4_iiliS3_S3_S3_S3_PiS4_ilS8_
                                        ; -- End function
	.section	.AMDGPU.csdata,"",@progbits
; Kernel info:
; codeLenInByte = 9464
; NumSgprs: 100
; NumVgprs: 37
; NumAgprs: 0
; TotalNumVgprs: 37
; ScratchSize: 0
; MemoryBound: 0
; FloatMode: 240
; IeeeMode: 1
; LDSByteSize: 2072 bytes/workgroup (compile time only)
; SGPRBlocks: 12
; VGPRBlocks: 4
; NumSGPRsForWavesPerEU: 100
; NumVGPRsForWavesPerEU: 37
; AccumOffset: 40
; Occupancy: 8
; WaveLimiterHint : 1
; COMPUTE_PGM_RSRC2:SCRATCH_EN: 0
; COMPUTE_PGM_RSRC2:USER_SGPR: 6
; COMPUTE_PGM_RSRC2:TRAP_HANDLER: 0
; COMPUTE_PGM_RSRC2:TGID_X_EN: 1
; COMPUTE_PGM_RSRC2:TGID_Y_EN: 1
; COMPUTE_PGM_RSRC2:TGID_Z_EN: 1
; COMPUTE_PGM_RSRC2:TIDIG_COMP_CNT: 0
; COMPUTE_PGM_RSRC3_GFX90A:ACCUM_OFFSET: 9
; COMPUTE_PGM_RSRC3_GFX90A:TG_SPLIT: 0
	.section	.text._ZN9rocsolver6v33100L12bdsqr_rotateIddPdS2_S2_EEviiiiT1_iilT2_iilT3_iiliPiPT0_ilS6_,"axG",@progbits,_ZN9rocsolver6v33100L12bdsqr_rotateIddPdS2_S2_EEviiiiT1_iilT2_iilT3_iiliPiPT0_ilS6_,comdat
	.globl	_ZN9rocsolver6v33100L12bdsqr_rotateIddPdS2_S2_EEviiiiT1_iilT2_iilT3_iiliPiPT0_ilS6_ ; -- Begin function _ZN9rocsolver6v33100L12bdsqr_rotateIddPdS2_S2_EEviiiiT1_iilT2_iilT3_iiliPiPT0_ilS6_
	.p2align	8
	.type	_ZN9rocsolver6v33100L12bdsqr_rotateIddPdS2_S2_EEviiiiT1_iilT2_iilT3_iiliPiPT0_ilS6_,@function
_ZN9rocsolver6v33100L12bdsqr_rotateIddPdS2_S2_EEviiiiT1_iilT2_iilT3_iiliPiPT0_ilS6_: ; @_ZN9rocsolver6v33100L12bdsqr_rotateIddPdS2_S2_EEviiiiT1_iilT2_iilT3_iiliPiPT0_ilS6_
; %bb.0:
	s_load_dwordx4 s[0:3], s[4:5], 0x78
	s_ashr_i32 s9, s8, 31
	s_lshl_b64 s[10:11], s[8:9], 2
	s_waitcnt lgkmcnt(0)
	s_add_u32 s2, s2, s10
	s_addc_u32 s3, s3, s11
	s_load_dword s2, s[2:3], 0x8
	s_waitcnt lgkmcnt(0)
	s_cmp_lg_u32 s2, 0
	s_cbranch_scc1 .LBB21_25
; %bb.1:
	s_load_dwordx8 s[12:19], s[4:5], 0x10
	s_add_u32 s24, s4, 0x88
	s_addc_u32 s25, s5, 0
	s_mov_b64 s[2:3], 0
	s_mov_b64 s[10:11], 0
	s_waitcnt lgkmcnt(0)
	s_cmp_eq_u64 s[12:13], 0
	s_cbranch_scc1 .LBB21_3
; %bb.2:
	s_ashr_i32 s11, s14, 31
	s_mov_b32 s10, s14
	s_mul_i32 s14, s8, s17
	s_mul_hi_u32 s17, s8, s16
	s_add_i32 s14, s17, s14
	s_mul_i32 s17, s9, s16
	s_add_i32 s17, s14, s17
	s_mul_i32 s16, s8, s16
	s_lshl_b64 s[16:17], s[16:17], 3
	s_add_u32 s12, s12, s16
	s_addc_u32 s13, s13, s17
	s_lshl_b64 s[10:11], s[10:11], 3
	s_add_u32 s10, s12, s10
	s_addc_u32 s11, s13, s11
.LBB21_3:
	s_load_dwordx2 s[12:13], s[4:5], 0x30
	s_load_dwordx4 s[20:23], s[4:5], 0x38
	s_cmp_eq_u64 s[18:19], 0
	s_cbranch_scc1 .LBB21_5
; %bb.4:
	s_waitcnt lgkmcnt(0)
	s_ashr_i32 s3, s12, 31
	s_mov_b32 s2, s12
	s_mul_i32 s12, s8, s21
	s_mul_hi_u32 s14, s8, s20
	s_add_i32 s12, s14, s12
	s_mul_i32 s14, s9, s20
	s_add_i32 s17, s12, s14
	s_mul_i32 s16, s8, s20
	s_lshl_b64 s[16:17], s[16:17], 3
	s_add_u32 s12, s18, s16
	s_addc_u32 s14, s19, s17
	s_lshl_b64 s[2:3], s[2:3], 3
	s_add_u32 s2, s12, s2
	s_addc_u32 s3, s14, s3
.LBB21_5:
	s_load_dwordx2 s[26:27], s[4:5], 0x48
	s_waitcnt lgkmcnt(0)
	s_cmp_eq_u64 s[22:23], 0
	s_mov_b64 s[20:21], 0
	s_cbranch_scc1 .LBB21_7
; %bb.6:
	s_load_dwordx2 s[16:17], s[4:5], 0x50
	s_ashr_i32 s19, s26, 31
	s_mov_b32 s18, s26
	s_waitcnt lgkmcnt(0)
	s_mul_i32 s12, s8, s17
	s_mul_hi_u32 s14, s8, s16
	s_mul_i32 s17, s9, s16
	s_add_i32 s12, s14, s12
	s_add_i32 s17, s12, s17
	s_mul_i32 s16, s8, s16
	s_lshl_b64 s[16:17], s[16:17], 3
	s_add_u32 s12, s22, s16
	s_addc_u32 s14, s23, s17
	s_lshl_b64 s[16:17], s[18:19], 3
	s_add_u32 s20, s12, s16
	s_addc_u32 s21, s14, s17
.LBB21_7:
	s_load_dwordx4 s[16:19], s[4:5], 0x60
	s_mul_i32 s1, s8, s1
	s_mul_hi_u32 s12, s8, s0
	s_add_i32 s1, s12, s1
	s_mul_i32 s9, s9, s0
	s_add_i32 s1, s1, s9
	s_mul_i32 s0, s8, s0
	s_lshl_b64 s[22:23], s[0:1], 3
	s_waitcnt lgkmcnt(0)
	s_add_u32 s0, s18, s22
	s_addc_u32 s1, s19, s23
	s_load_dwordx2 s[0:1], s[0:1], 0x10
	s_waitcnt lgkmcnt(0)
	v_cvt_i32_f64_e32 v6, s[0:1]
	v_cmp_ge_i32_e32 vcc, s7, v6
	s_cbranch_vccnz .LBB21_25
; %bb.8:
	s_load_dwordx4 s[28:31], s[4:5], 0x0
	s_load_dword s12, s[4:5], 0x58
	s_load_dword s9, s[4:5], 0x94
	;; [unrolled: 1-line block ×3, first 2 shown]
	v_mov_b32_e32 v10, 0
	s_waitcnt lgkmcnt(0)
	s_mul_i32 s0, s8, s28
	s_lshl_b32 s0, s0, 1
	s_ashr_i32 s1, s0, 31
	s_lshl_b64 s[0:1], s[0:1], 2
	s_add_u32 s36, s16, s0
	s_addc_u32 s37, s17, s1
	s_and_b32 s0, 0xffff, s9
	s_mul_i32 s6, s6, s0
	s_cmp_eq_u32 s29, 0
	v_add_u32_e32 v7, s6, v0
	s_cselect_b64 s[0:1], -1, 0
	s_cmp_lg_u64 s[10:11], 0
	s_cselect_b64 s[4:5], -1, 0
	v_cmp_gt_i32_e32 vcc, s29, v7
	s_and_b64 s[4:5], vcc, s[4:5]
	s_cmp_lg_u64 s[2:3], 0
	s_cselect_b64 s[8:9], -1, 0
	v_cmp_gt_i32_e32 vcc, s30, v7
	s_and_b64 s[8:9], vcc, s[8:9]
	s_cmp_lg_u64 s[20:21], 0
	v_mul_lo_u32 v8, v7, s15
	s_cselect_b64 s[14:15], -1, 0
	v_cmp_gt_i32_e32 vcc, s31, v7
	s_and_b64 s[14:15], vcc, s[14:15]
	s_load_dword s6, s[24:25], 0x4
	s_add_u32 s38, s18, s22
	s_addc_u32 s39, s19, s23
	s_add_u32 s40, s38, 40
	v_mul_lo_u32 v9, v7, s27
	s_addc_u32 s41, s39, 0
	s_branch .LBB21_12
.LBB21_9:                               ;   in Loop: Header=BB21_12 Depth=1
	v_mov_b32_e32 v2, s23
	v_subrev_co_u32_e32 v3, vcc, s22, v4
	s_add_u32 s16, s18, s20
	v_subb_co_u32_e32 v4, vcc, v5, v2, vcc
	s_addc_u32 s17, s19, s21
	v_mov_b32_e32 v5, s17
	v_add_co_u32_e32 v2, vcc, s16, v3
	v_addc_co_u32_e32 v3, vcc, v5, v4, vcc
	flat_store_dwordx2 v[2:3], v[0:1]
.LBB21_10:                              ;   in Loop: Header=BB21_12 Depth=1
	s_or_b64 exec, exec, s[28:29]
.LBB21_11:                              ;   in Loop: Header=BB21_12 Depth=1
	s_add_i32 s7, s6, s7
	v_cmp_lt_i32_e32 vcc, s7, v6
	s_cbranch_vccz .LBB21_25
.LBB21_12:                              ; =>This Loop Header: Depth=1
                                        ;     Child Loop BB21_16 Depth 2
                                        ;     Child Loop BB21_20 Depth 2
	;; [unrolled: 1-line block ×3, first 2 shown]
	s_lshl_b32 s16, s7, 2
	s_ashr_i32 s17, s16, 31
	s_lshl_b64 s[16:17], s[16:17], 2
	s_add_u32 s16, s36, s16
	s_addc_u32 s17, s37, s17
	s_load_dwordx2 s[18:19], s[16:17], 0x0
	s_load_dword s24, s[16:17], 0x8
	s_waitcnt lgkmcnt(0)
	s_cmp_le_i32 s24, s19
	s_cbranch_scc1 .LBB21_11
; %bb.13:                               ;   in Loop: Header=BB21_12 Depth=1
	s_load_dword s16, s[16:17], 0xc
	s_waitcnt lgkmcnt(0)
	s_cmp_lt_i32 s16, s12
	s_cselect_b64 s[16:17], -1, 0
	s_cmp_lg_u32 s18, 0
	s_cselect_b64 s[22:23], -1, 0
	s_and_b64 s[16:17], s[16:17], s[22:23]
	s_andn2_b64 vcc, exec, s[16:17]
	s_cbranch_vccnz .LBB21_11
; %bb.14:                               ;   in Loop: Header=BB21_12 Depth=1
	s_mul_i32 s22, s19, s33
	s_ashr_i32 s23, s22, 31
	s_cmp_gt_i32 s18, 0
	s_cselect_b64 s[26:27], -1, 0
	s_sub_i32 s16, s24, s19
	s_and_saveexec_b64 s[28:29], s[4:5]
	s_cbranch_execz .LBB21_18
; %bb.15:                               ;   in Loop: Header=BB21_12 Depth=1
	s_and_b64 s[30:31], s[26:27], exec
	s_cselect_b32 s17, s19, s24
	v_add_u32_e32 v4, s17, v8
	v_ashrrev_i32_e32 v5, 31, v4
	v_lshlrev_b64 v[0:1], 3, v[4:5]
	v_mov_b32_e32 v12, s11
	v_add_co_u32_e32 v2, vcc, s10, v0
	v_addc_co_u32_e32 v3, vcc, v12, v1, vcc
	flat_load_dwordx2 v[0:1], v[2:3]
	s_add_i32 s17, s16, -1
	s_and_b64 s[30:31], s[26:27], exec
	s_cselect_b32 s30, 0, s17
	s_ashr_i32 s31, s30, 31
	s_lshl_b64 s[30:31], s[30:31], 3
	s_lshl_b64 s[34:35], s[22:23], 3
	s_add_u32 s43, s30, s34
	s_addc_u32 s44, s31, s35
	s_add_u32 s17, s38, s43
	s_addc_u32 s42, s39, s44
	s_ashr_i32 s31, s18, 31
	s_mov_b32 s30, s18
	s_ashr_i32 s25, s24, 31
	s_lshl_b64 s[30:31], s[30:31], 3
	s_lshl_b64 s[34:35], s[24:25], 3
	s_add_u32 s25, s43, s34
	s_addc_u32 s43, s44, s35
	s_ashr_i32 s35, s19, 31
	s_mov_b32 s34, s19
	s_lshl_b64 s[34:35], s[34:35], 3
	v_add_u32_e32 v4, s18, v4
	s_sub_u32 s25, s25, s34
	v_ashrrev_i32_e32 v5, 31, v4
	s_subb_u32 s34, s43, s35
	v_lshlrev_b64 v[4:5], 3, v[4:5]
	s_add_u32 s25, s40, s25
	v_add_co_u32_e32 v11, vcc, s10, v4
	s_addc_u32 s43, s41, s34
	v_addc_co_u32_e32 v12, vcc, v12, v5, vcc
	s_mov_b64 s[34:35], 0
	s_mov_b32 s44, s16
.LBB21_16:                              ;   Parent Loop BB21_12 Depth=1
                                        ; =>  This Inner Loop Header: Depth=2
	s_add_u32 s46, s17, s34
	s_addc_u32 s47, s42, s35
	v_mov_b32_e32 v13, s35
	v_add_co_u32_e32 v14, vcc, s34, v11
	s_add_u32 s48, s25, s34
	v_addc_co_u32_e32 v15, vcc, v12, v13, vcc
	s_addc_u32 s49, s43, s35
	flat_load_dwordx2 v[14:15], v[14:15]
	s_add_i32 s44, s44, -1
	global_load_dwordx2 v[16:17], v10, s[46:47] offset:32
	global_load_dwordx2 v[18:19], v10, s[48:49]
	v_add_co_u32_e32 v20, vcc, s34, v2
	s_add_u32 s34, s34, s30
	s_addc_u32 s35, s35, s31
	v_addc_co_u32_e32 v21, vcc, v3, v13, vcc
	s_cmp_eq_u32 s44, 0
	s_waitcnt vmcnt(0) lgkmcnt(0)
	v_mul_f64 v[22:23], v[14:15], v[18:19]
	v_fma_f64 v[22:23], v[0:1], v[16:17], -v[22:23]
	v_mul_f64 v[0:1], v[0:1], v[18:19]
	v_fmac_f64_e32 v[0:1], v[14:15], v[16:17]
	flat_store_dwordx2 v[20:21], v[22:23]
	s_cbranch_scc0 .LBB21_16
; %bb.17:                               ;   in Loop: Header=BB21_12 Depth=1
	v_mov_b32_e32 v2, s31
	v_subrev_co_u32_e32 v3, vcc, s30, v4
	s_add_u32 s17, s34, s10
	v_subb_co_u32_e32 v4, vcc, v5, v2, vcc
	s_addc_u32 s25, s35, s11
	v_mov_b32_e32 v5, s25
	v_add_co_u32_e32 v2, vcc, s17, v3
	v_addc_co_u32_e32 v3, vcc, v5, v4, vcc
	flat_store_dwordx2 v[2:3], v[0:1]
.LBB21_18:                              ;   in Loop: Header=BB21_12 Depth=1
	s_or_b64 exec, exec, s[28:29]
	s_lshl_b32 s17, s16, 1
	s_add_i32 s17, s17, 2
	s_and_b64 s[28:29], s[0:1], exec
	s_cselect_b32 s25, 0, s17
	s_and_saveexec_b64 s[28:29], s[8:9]
	s_cbranch_execz .LBB21_22
; %bb.19:                               ;   in Loop: Header=BB21_12 Depth=1
	s_and_b64 s[30:31], s[26:27], exec
	s_cselect_b32 s46, s19, s24
	s_mul_i32 s42, s46, s13
	v_add_u32_e32 v0, s42, v7
	v_ashrrev_i32_e32 v1, 31, v0
	v_lshlrev_b64 v[0:1], 3, v[0:1]
	v_mov_b32_e32 v2, s3
	v_add_co_u32_e32 v0, vcc, s2, v0
	v_addc_co_u32_e32 v1, vcc, v2, v1, vcc
	flat_load_dwordx2 v[0:1], v[0:1]
	s_add_i32 s17, s16, -1
	s_and_b64 s[30:31], s[26:27], exec
	s_cselect_b32 s17, 0, s17
	s_add_i32 s30, s25, s17
	s_ashr_i32 s31, s30, 31
	s_ashr_i32 s17, s16, 31
	s_lshl_b64 s[34:35], s[22:23], 3
	s_lshl_b64 s[30:31], s[30:31], 3
	s_add_u32 s30, s34, s30
	s_addc_u32 s31, s35, s31
	s_add_u32 s30, s38, s30
	s_addc_u32 s31, s39, s31
	s_ashr_i32 s35, s18, 31
	s_mov_b32 s34, s18
	s_lshl_b64 s[34:35], s[34:35], 3
	s_lshl_b64 s[44:45], s[16:17], 3
	s_add_u32 s17, s44, 40
	s_addc_u32 s43, s45, 0
	s_add_i32 s46, s46, s18
	s_mul_i32 s44, s13, s46
	s_mul_i32 s45, s13, s18
	v_mov_b32_e32 v4, v7
	s_mov_b32 s46, s16
.LBB21_20:                              ;   Parent Loop BB21_12 Depth=1
                                        ; =>  This Inner Loop Header: Depth=2
	v_add_u32_e32 v2, s44, v4
	v_ashrrev_i32_e32 v3, 31, v2
	v_lshlrev_b64 v[2:3], 3, v[2:3]
	v_mov_b32_e32 v5, s3
	s_add_u32 s48, s30, s17
	v_add_co_u32_e32 v2, vcc, s2, v2
	s_addc_u32 s49, s31, s43
	v_addc_co_u32_e32 v3, vcc, v5, v3, vcc
	global_load_dwordx2 v[12:13], v10, s[30:31] offset:32
	global_load_dwordx2 v[14:15], v10, s[48:49]
	flat_load_dwordx2 v[16:17], v[2:3]
	v_add_u32_e32 v18, s42, v4
	v_ashrrev_i32_e32 v19, 31, v18
	s_add_i32 s46, s46, -1
	v_lshlrev_b64 v[18:19], 3, v[18:19]
	s_add_u32 s30, s30, s34
	v_add_co_u32_e32 v18, vcc, s2, v18
	s_addc_u32 s31, s31, s35
	v_add_u32_e32 v4, s45, v4
	v_addc_co_u32_e32 v19, vcc, v5, v19, vcc
	s_cmp_eq_u32 s46, 0
	s_waitcnt vmcnt(0) lgkmcnt(0)
	v_mul_f64 v[20:21], v[16:17], v[14:15]
	v_fma_f64 v[20:21], v[0:1], v[12:13], -v[20:21]
	v_mul_f64 v[0:1], v[0:1], v[14:15]
	v_fmac_f64_e32 v[0:1], v[16:17], v[12:13]
	flat_store_dwordx2 v[18:19], v[20:21]
	s_cbranch_scc0 .LBB21_20
; %bb.21:                               ;   in Loop: Header=BB21_12 Depth=1
	flat_store_dwordx2 v[2:3], v[0:1]
.LBB21_22:                              ;   in Loop: Header=BB21_12 Depth=1
	s_or_b64 exec, exec, s[28:29]
	s_and_saveexec_b64 s[28:29], s[14:15]
	s_cbranch_execz .LBB21_10
; %bb.23:                               ;   in Loop: Header=BB21_12 Depth=1
	s_and_b64 s[30:31], s[26:27], exec
	s_cselect_b32 s17, s19, s24
	v_add_u32_e32 v4, s17, v9
	v_ashrrev_i32_e32 v5, 31, v4
	v_lshlrev_b64 v[0:1], 3, v[4:5]
	v_mov_b32_e32 v12, s21
	v_add_co_u32_e32 v2, vcc, s20, v0
	v_addc_co_u32_e32 v3, vcc, v12, v1, vcc
	flat_load_dwordx2 v[0:1], v[2:3]
	s_add_i32 s17, s16, -1
	s_and_b64 s[26:27], s[26:27], exec
	s_cselect_b32 s17, 0, s17
	s_add_i32 s24, s25, s17
	s_ashr_i32 s25, s24, 31
	s_ashr_i32 s17, s16, 31
	s_lshl_b64 s[22:23], s[22:23], 3
	s_lshl_b64 s[24:25], s[24:25], 3
	s_add_u32 s30, s22, s24
	s_addc_u32 s31, s23, s25
	s_add_u32 s24, s38, s30
	s_addc_u32 s25, s39, s31
	s_ashr_i32 s19, s18, 31
	s_lshl_b64 s[22:23], s[18:19], 3
	s_lshl_b64 s[26:27], s[16:17], 3
	v_add_u32_e32 v4, s18, v4
	s_add_u32 s17, s30, s26
	v_ashrrev_i32_e32 v5, 31, v4
	s_addc_u32 s19, s31, s27
	v_lshlrev_b64 v[4:5], 3, v[4:5]
	s_add_u32 s17, s40, s17
	v_add_co_u32_e32 v11, vcc, s20, v4
	s_addc_u32 s26, s41, s19
	v_addc_co_u32_e32 v12, vcc, v12, v5, vcc
	s_mov_b64 s[18:19], 0
.LBB21_24:                              ;   Parent Loop BB21_12 Depth=1
                                        ; =>  This Inner Loop Header: Depth=2
	s_add_u32 s30, s24, s18
	s_addc_u32 s31, s25, s19
	v_mov_b32_e32 v13, s19
	v_add_co_u32_e32 v14, vcc, s18, v11
	s_add_u32 s34, s17, s18
	v_addc_co_u32_e32 v15, vcc, v12, v13, vcc
	s_addc_u32 s35, s26, s19
	flat_load_dwordx2 v[14:15], v[14:15]
	s_add_i32 s16, s16, -1
	global_load_dwordx2 v[16:17], v10, s[30:31] offset:32
	global_load_dwordx2 v[18:19], v10, s[34:35]
	v_add_co_u32_e32 v20, vcc, s18, v2
	s_add_u32 s18, s18, s22
	s_addc_u32 s19, s19, s23
	v_addc_co_u32_e32 v21, vcc, v3, v13, vcc
	s_cmp_eq_u32 s16, 0
	s_waitcnt vmcnt(0) lgkmcnt(0)
	v_mul_f64 v[22:23], v[14:15], v[18:19]
	v_fma_f64 v[22:23], v[0:1], v[16:17], -v[22:23]
	v_mul_f64 v[0:1], v[0:1], v[18:19]
	v_fmac_f64_e32 v[0:1], v[14:15], v[16:17]
	flat_store_dwordx2 v[20:21], v[22:23]
	s_cbranch_scc0 .LBB21_24
	s_branch .LBB21_9
.LBB21_25:
	s_endpgm
	.section	.rodata,"a",@progbits
	.p2align	6, 0x0
	.amdhsa_kernel _ZN9rocsolver6v33100L12bdsqr_rotateIddPdS2_S2_EEviiiiT1_iilT2_iilT3_iiliPiPT0_ilS6_
		.amdhsa_group_segment_fixed_size 0
		.amdhsa_private_segment_fixed_size 0
		.amdhsa_kernarg_size 392
		.amdhsa_user_sgpr_count 6
		.amdhsa_user_sgpr_private_segment_buffer 1
		.amdhsa_user_sgpr_dispatch_ptr 0
		.amdhsa_user_sgpr_queue_ptr 0
		.amdhsa_user_sgpr_kernarg_segment_ptr 1
		.amdhsa_user_sgpr_dispatch_id 0
		.amdhsa_user_sgpr_flat_scratch_init 0
		.amdhsa_user_sgpr_kernarg_preload_length 0
		.amdhsa_user_sgpr_kernarg_preload_offset 0
		.amdhsa_user_sgpr_private_segment_size 0
		.amdhsa_uses_dynamic_stack 0
		.amdhsa_system_sgpr_private_segment_wavefront_offset 0
		.amdhsa_system_sgpr_workgroup_id_x 1
		.amdhsa_system_sgpr_workgroup_id_y 1
		.amdhsa_system_sgpr_workgroup_id_z 1
		.amdhsa_system_sgpr_workgroup_info 0
		.amdhsa_system_vgpr_workitem_id 0
		.amdhsa_next_free_vgpr 24
		.amdhsa_next_free_sgpr 50
		.amdhsa_accum_offset 24
		.amdhsa_reserve_vcc 1
		.amdhsa_reserve_flat_scratch 0
		.amdhsa_float_round_mode_32 0
		.amdhsa_float_round_mode_16_64 0
		.amdhsa_float_denorm_mode_32 3
		.amdhsa_float_denorm_mode_16_64 3
		.amdhsa_dx10_clamp 1
		.amdhsa_ieee_mode 1
		.amdhsa_fp16_overflow 0
		.amdhsa_tg_split 0
		.amdhsa_exception_fp_ieee_invalid_op 0
		.amdhsa_exception_fp_denorm_src 0
		.amdhsa_exception_fp_ieee_div_zero 0
		.amdhsa_exception_fp_ieee_overflow 0
		.amdhsa_exception_fp_ieee_underflow 0
		.amdhsa_exception_fp_ieee_inexact 0
		.amdhsa_exception_int_div_zero 0
	.end_amdhsa_kernel
	.section	.text._ZN9rocsolver6v33100L12bdsqr_rotateIddPdS2_S2_EEviiiiT1_iilT2_iilT3_iiliPiPT0_ilS6_,"axG",@progbits,_ZN9rocsolver6v33100L12bdsqr_rotateIddPdS2_S2_EEviiiiT1_iilT2_iilT3_iiliPiPT0_ilS6_,comdat
.Lfunc_end21:
	.size	_ZN9rocsolver6v33100L12bdsqr_rotateIddPdS2_S2_EEviiiiT1_iilT2_iilT3_iiliPiPT0_ilS6_, .Lfunc_end21-_ZN9rocsolver6v33100L12bdsqr_rotateIddPdS2_S2_EEviiiiT1_iilT2_iilT3_iiliPiPT0_ilS6_
                                        ; -- End function
	.section	.AMDGPU.csdata,"",@progbits
; Kernel info:
; codeLenInByte = 1688
; NumSgprs: 54
; NumVgprs: 24
; NumAgprs: 0
; TotalNumVgprs: 24
; ScratchSize: 0
; MemoryBound: 0
; FloatMode: 240
; IeeeMode: 1
; LDSByteSize: 0 bytes/workgroup (compile time only)
; SGPRBlocks: 6
; VGPRBlocks: 2
; NumSGPRsForWavesPerEU: 54
; NumVGPRsForWavesPerEU: 24
; AccumOffset: 24
; Occupancy: 8
; WaveLimiterHint : 1
; COMPUTE_PGM_RSRC2:SCRATCH_EN: 0
; COMPUTE_PGM_RSRC2:USER_SGPR: 6
; COMPUTE_PGM_RSRC2:TRAP_HANDLER: 0
; COMPUTE_PGM_RSRC2:TGID_X_EN: 1
; COMPUTE_PGM_RSRC2:TGID_Y_EN: 1
; COMPUTE_PGM_RSRC2:TGID_Z_EN: 1
; COMPUTE_PGM_RSRC2:TIDIG_COMP_CNT: 0
; COMPUTE_PGM_RSRC3_GFX90A:ACCUM_OFFSET: 5
; COMPUTE_PGM_RSRC3_GFX90A:TG_SPLIT: 0
	.section	.text._ZN9rocsolver6v33100L22bdsqr_update_endpointsIddEEviPT0_lPiS3_lS4_,"axG",@progbits,_ZN9rocsolver6v33100L22bdsqr_update_endpointsIddEEviPT0_lPiS3_lS4_,comdat
	.globl	_ZN9rocsolver6v33100L22bdsqr_update_endpointsIddEEviPT0_lPiS3_lS4_ ; -- Begin function _ZN9rocsolver6v33100L22bdsqr_update_endpointsIddEEviPT0_lPiS3_lS4_
	.p2align	8
	.type	_ZN9rocsolver6v33100L22bdsqr_update_endpointsIddEEviPT0_lPiS3_lS4_,@function
_ZN9rocsolver6v33100L22bdsqr_update_endpointsIddEEviPT0_lPiS3_lS4_: ; @_ZN9rocsolver6v33100L22bdsqr_update_endpointsIddEEviPT0_lPiS3_lS4_
; %bb.0:
	s_load_dwordx4 s[0:3], s[4:5], 0x28
	s_ashr_i32 s9, s8, 31
	s_lshl_b64 s[10:11], s[8:9], 2
	s_waitcnt lgkmcnt(0)
	s_add_u32 s2, s2, s10
	s_addc_u32 s3, s3, s11
	s_load_dword s2, s[2:3], 0x8
	s_waitcnt lgkmcnt(0)
	s_cmp_lg_u32 s2, 0
	s_cbranch_scc1 .LBB22_31
; %bb.1:
	s_load_dwordx8 s[12:19], s[4:5], 0x8
	s_mul_i32 s1, s8, s1
	s_mul_hi_u32 s2, s8, s0
	s_add_i32 s1, s2, s1
	s_mul_i32 s2, s9, s0
	s_add_i32 s1, s1, s2
	s_mul_i32 s0, s8, s0
	s_lshl_b64 s[0:1], s[0:1], 3
	s_waitcnt lgkmcnt(0)
	s_add_u32 s2, s18, s0
	s_addc_u32 s3, s19, s1
	s_load_dwordx4 s[20:23], s[2:3], 0x8
	s_waitcnt lgkmcnt(0)
	v_cvt_i32_f64_e32 v10, s[22:23]
	v_cmp_ge_i32_e32 vcc, s7, v10
	s_cbranch_vccnz .LBB22_31
; %bb.2:
	s_mul_i32 s0, s8, s15
	s_mul_hi_u32 s1, s8, s14
	s_add_i32 s0, s1, s0
	s_mul_i32 s1, s9, s14
	s_load_dword s9, s[4:5], 0x0
	s_load_dword s19, s[4:5], 0x3c
	s_add_i32 s1, s0, s1
	s_mul_i32 s0, s8, s14
	s_lshl_b64 s[0:1], s[0:1], 3
	s_add_u32 s6, s12, s0
	s_waitcnt lgkmcnt(0)
	s_mul_i32 s0, s8, s9
	s_addc_u32 s18, s13, s1
	s_lshl_b32 s0, s0, 1
	s_ashr_i32 s1, s0, 31
	s_lshl_b64 s[0:1], s[0:1], 2
	s_add_u32 s16, s16, s0
	s_addc_u32 s17, s17, s1
	s_add_u32 s22, s6, -8
	v_cvt_f64_i32_e32 v[4:5], v10
	s_addc_u32 s23, s18, -1
	v_mov_b32_e32 v6, 0
	s_branch .LBB22_4
.LBB22_3:                               ;   in Loop: Header=BB22_4 Depth=1
	s_add_i32 s7, s19, s7
	v_cmp_lt_i32_e32 vcc, s7, v10
	v_mov_b32_e32 v0, s24
	v_mov_b32_e32 v1, s14
	global_store_dwordx2 v6, v[0:1], s[4:5] offset:4
	s_cbranch_vccz .LBB22_31
.LBB22_4:                               ; =>This Loop Header: Depth=1
                                        ;     Child Loop BB22_9 Depth 2
                                        ;     Child Loop BB22_14 Depth 2
	;; [unrolled: 1-line block ×3, first 2 shown]
                                        ;       Child Loop BB22_26 Depth 3
	s_lshl_b32 s0, s7, 2
	s_ashr_i32 s1, s0, 31
	s_lshl_b64 s[0:1], s[0:1], 2
	s_add_u32 s4, s16, s0
	s_addc_u32 s5, s17, s1
	global_load_dwordx4 v[0:3], v6, s[4:5]
	s_waitcnt vmcnt(0)
	v_readfirstlane_b32 s0, v0
	s_cmp_eq_u32 s0, 0
	s_cselect_b64 s[0:1], -1, 0
	v_readfirstlane_b32 s10, v1
	v_readfirstlane_b32 s8, v2
	s_and_b64 vcc, exec, s[0:1]
	v_mov_b32_e32 v2, v3
	s_cbranch_vccnz .LBB22_6
; %bb.5:                                ;   in Loop: Header=BB22_4 Depth=1
	s_sub_i32 s9, s8, s10
	v_add_u32_e32 v2, s9, v3
	global_store_dword v6, v2, s[4:5] offset:12
.LBB22_6:                               ;   in Loop: Header=BB22_4 Depth=1
	s_cmp_le_i32 s8, s10
	s_cbranch_scc1 .LBB22_16
; %bb.7:                                ;   in Loop: Header=BB22_4 Depth=1
	s_ashr_i32 s11, s10, 31
	s_lshl_b64 s[12:13], s[10:11], 3
	s_add_u32 s12, s6, s12
	s_addc_u32 s13, s18, s13
	s_branch .LBB22_9
.LBB22_8:                               ;   in Loop: Header=BB22_9 Depth=2
	v_mov_b32_e32 v7, v6
	s_add_i32 s10, s10, 1
	global_store_dwordx2 v6, v[6:7], s[12:13]
	s_add_u32 s12, s12, 8
	s_addc_u32 s13, s13, 0
	s_cmp_ge_i32 s10, s8
	s_cselect_b64 s[14:15], -1, 0
	s_mov_b32 s24, s8
	s_andn2_b64 vcc, exec, s[14:15]
	s_cbranch_vccz .LBB22_11
.LBB22_9:                               ;   Parent Loop BB22_4 Depth=1
                                        ; =>  This Inner Loop Header: Depth=2
	global_load_dwordx2 v[0:1], v6, s[12:13]
	s_mov_b64 s[14:15], -1
	s_waitcnt vmcnt(0)
	v_cmp_nlt_f64_e64 s[24:25], |v[0:1]|, s[20:21]
	s_and_b64 vcc, exec, s[24:25]
	s_cbranch_vccz .LBB22_8
; %bb.10:                               ;   in Loop: Header=BB22_9 Depth=2
	s_mov_b32 s24, s10
                                        ; implicit-def: $sgpr10
                                        ; implicit-def: $sgpr12_sgpr13
	s_andn2_b64 vcc, exec, s[14:15]
	s_cbranch_vccnz .LBB22_9
.LBB22_11:                              ;   in Loop: Header=BB22_4 Depth=1
	s_cmp_le_i32 s8, s24
	s_cbranch_scc1 .LBB22_17
.LBB22_12:                              ;   in Loop: Header=BB22_4 Depth=1
	s_ashr_i32 s9, s8, 31
	s_lshl_b64 s[10:11], s[8:9], 3
	s_add_u32 s10, s22, s10
	s_addc_u32 s11, s23, s11
	s_branch .LBB22_14
.LBB22_13:                              ;   in Loop: Header=BB22_14 Depth=2
	v_mov_b32_e32 v7, v6
	s_add_i32 s8, s8, -1
	global_store_dwordx2 v6, v[6:7], s[10:11]
	s_add_u32 s10, s10, -8
	s_addc_u32 s11, s11, -1
	s_cmp_le_i32 s8, s24
	s_cselect_b64 s[12:13], -1, 0
	s_mov_b32 s14, s24
	s_andn2_b64 vcc, exec, s[12:13]
	s_cbranch_vccz .LBB22_18
.LBB22_14:                              ;   Parent Loop BB22_4 Depth=1
                                        ; =>  This Inner Loop Header: Depth=2
	global_load_dwordx2 v[0:1], v6, s[10:11]
	s_mov_b64 s[12:13], -1
	s_waitcnt vmcnt(0)
	v_cmp_nlt_f64_e64 s[14:15], |v[0:1]|, s[20:21]
	s_and_b64 vcc, exec, s[14:15]
	s_cbranch_vccz .LBB22_13
; %bb.15:                               ;   in Loop: Header=BB22_14 Depth=2
	s_mov_b32 s14, s8
                                        ; implicit-def: $sgpr8
                                        ; implicit-def: $sgpr10_sgpr11
	s_andn2_b64 vcc, exec, s[12:13]
	s_cbranch_vccnz .LBB22_14
	s_branch .LBB22_18
.LBB22_16:                              ;   in Loop: Header=BB22_4 Depth=1
	s_mov_b32 s24, s10
	s_cmp_le_i32 s8, s24
	s_cbranch_scc0 .LBB22_12
.LBB22_17:                              ;   in Loop: Header=BB22_4 Depth=1
	s_mov_b32 s14, s8
.LBB22_18:                              ;   in Loop: Header=BB22_4 Depth=1
	s_cmp_lt_i32 s24, s14
	s_cselect_b64 s[8:9], -1, 0
	s_and_b64 s[0:1], s[0:1], s[8:9]
	s_andn2_b64 vcc, exec, s[0:1]
	s_mov_b32 s8, s24
	s_cbranch_vccnz .LBB22_3
.LBB22_19:                              ;   Parent Loop BB22_4 Depth=1
                                        ; =>  This Loop Header: Depth=2
                                        ;       Child Loop BB22_26 Depth 3
	s_ashr_i32 s9, s8, 31
	s_lshl_b64 s[0:1], s[8:9], 3
	s_add_u32 s0, s6, s0
	s_addc_u32 s1, s18, s1
	global_load_dwordx2 v[0:1], v6, s[0:1]
	s_mov_b64 s[10:11], -1
                                        ; implicit-def: $sgpr9
	s_waitcnt vmcnt(0)
	v_cmp_lt_f64_e64 s[12:13], |v[0:1]|, s[20:21]
	s_and_b64 vcc, exec, s[12:13]
	s_cbranch_vccz .LBB22_22
; %bb.20:                               ;   in Loop: Header=BB22_19 Depth=2
	s_andn2_b64 vcc, exec, s[10:11]
	s_cbranch_vccz .LBB22_23
.LBB22_21:                              ;   in Loop: Header=BB22_19 Depth=2
	s_cmp_lt_i32 s9, s14
	s_cbranch_scc1 .LBB22_30
	s_branch .LBB22_3
.LBB22_22:                              ;   in Loop: Header=BB22_19 Depth=2
	s_add_i32 s9, s8, 1
	s_cbranch_execnz .LBB22_21
.LBB22_23:                              ;   in Loop: Header=BB22_19 Depth=2
	v_mov_b32_e32 v7, v6
	s_cmp_ge_i32 s24, s8
	global_store_dwordx2 v6, v[6:7], s[0:1]
	s_cbranch_scc1 .LBB22_29
; %bb.24:                               ;   in Loop: Header=BB22_19 Depth=2
	s_mov_b64 s[0:1], exec
	v_mbcnt_lo_u32_b32 v0, s0, 0
	v_mbcnt_hi_u32_b32 v3, s1, v0
	v_cmp_eq_u32_e32 vcc, 0, v3
                                        ; implicit-def: $vgpr0_vgpr1
	s_and_saveexec_b64 s[10:11], vcc
	s_cbranch_execz .LBB22_28
; %bb.25:                               ;   in Loop: Header=BB22_19 Depth=2
	global_load_dwordx2 v[0:1], v6, s[2:3] offset:24
	s_bcnt1_i32_b64 s0, s[0:1]
	v_cvt_f64_u32_e32 v[8:9], s0
	s_mov_b64 s[12:13], 0
.LBB22_26:                              ;   Parent Loop BB22_4 Depth=1
                                        ;     Parent Loop BB22_19 Depth=2
                                        ; =>    This Inner Loop Header: Depth=3
	s_waitcnt vmcnt(0)
	v_pk_mov_b32 v[14:15], v[0:1], v[0:1] op_sel:[0,1]
	v_add_f64 v[12:13], v[14:15], v[8:9]
	global_atomic_cmpswap_x2 v[0:1], v6, v[12:15], s[2:3] offset:24 glc
	s_waitcnt vmcnt(0)
	v_cmp_eq_u64_e64 s[0:1], v[0:1], v[14:15]
	s_or_b64 s[12:13], s[0:1], s[12:13]
	s_andn2_b64 exec, exec, s[12:13]
	s_cbranch_execnz .LBB22_26
; %bb.27:                               ;   in Loop: Header=BB22_19 Depth=2
	s_or_b64 exec, exec, s[12:13]
.LBB22_28:                              ;   in Loop: Header=BB22_19 Depth=2
	s_or_b64 exec, exec, s[10:11]
	v_readfirstlane_b32 s1, v1
	v_readfirstlane_b32 s0, v0
	v_cvt_f64_u32_e32 v[0:1], v3
	v_add_f64 v[0:1], s[0:1], v[0:1]
	v_mov_b32_e32 v3, s1
	v_cndmask_b32_e32 v1, v1, v3, vcc
	v_mov_b32_e32 v3, s0
	v_cndmask_b32_e32 v0, v0, v3, vcc
	v_add_f64 v[0:1], v[0:1], v[4:5]
	v_cvt_i32_f64_e32 v0, v[0:1]
	v_lshlrev_b32_e32 v0, 2, v0
	v_ashrrev_i32_e32 v1, 31, v0
	v_lshlrev_b64 v[0:1], 2, v[0:1]
	v_mov_b32_e32 v3, s17
	v_add_co_u32_e32 v8, vcc, s16, v0
	v_addc_co_u32_e32 v9, vcc, v3, v1, vcc
	v_mov_b32_e32 v0, s24
	v_mov_b32_e32 v1, s8
	global_store_dwordx3 v[8:9], v[0:2], off offset:4
.LBB22_29:                              ;   in Loop: Header=BB22_19 Depth=2
	s_add_i32 s9, s8, 1
	s_mov_b32 s24, s9
	s_cmp_lt_i32 s9, s14
	s_cbranch_scc0 .LBB22_3
.LBB22_30:                              ;   in Loop: Header=BB22_19 Depth=2
	s_mov_b32 s8, s9
	s_branch .LBB22_19
.LBB22_31:
	s_endpgm
	.section	.rodata,"a",@progbits
	.p2align	6, 0x0
	.amdhsa_kernel _ZN9rocsolver6v33100L22bdsqr_update_endpointsIddEEviPT0_lPiS3_lS4_
		.amdhsa_group_segment_fixed_size 0
		.amdhsa_private_segment_fixed_size 0
		.amdhsa_kernarg_size 312
		.amdhsa_user_sgpr_count 6
		.amdhsa_user_sgpr_private_segment_buffer 1
		.amdhsa_user_sgpr_dispatch_ptr 0
		.amdhsa_user_sgpr_queue_ptr 0
		.amdhsa_user_sgpr_kernarg_segment_ptr 1
		.amdhsa_user_sgpr_dispatch_id 0
		.amdhsa_user_sgpr_flat_scratch_init 0
		.amdhsa_user_sgpr_kernarg_preload_length 0
		.amdhsa_user_sgpr_kernarg_preload_offset 0
		.amdhsa_user_sgpr_private_segment_size 0
		.amdhsa_uses_dynamic_stack 0
		.amdhsa_system_sgpr_private_segment_wavefront_offset 0
		.amdhsa_system_sgpr_workgroup_id_x 1
		.amdhsa_system_sgpr_workgroup_id_y 1
		.amdhsa_system_sgpr_workgroup_id_z 1
		.amdhsa_system_sgpr_workgroup_info 0
		.amdhsa_system_vgpr_workitem_id 0
		.amdhsa_next_free_vgpr 16
		.amdhsa_next_free_sgpr 26
		.amdhsa_accum_offset 16
		.amdhsa_reserve_vcc 1
		.amdhsa_reserve_flat_scratch 0
		.amdhsa_float_round_mode_32 0
		.amdhsa_float_round_mode_16_64 0
		.amdhsa_float_denorm_mode_32 3
		.amdhsa_float_denorm_mode_16_64 3
		.amdhsa_dx10_clamp 1
		.amdhsa_ieee_mode 1
		.amdhsa_fp16_overflow 0
		.amdhsa_tg_split 0
		.amdhsa_exception_fp_ieee_invalid_op 0
		.amdhsa_exception_fp_denorm_src 0
		.amdhsa_exception_fp_ieee_div_zero 0
		.amdhsa_exception_fp_ieee_overflow 0
		.amdhsa_exception_fp_ieee_underflow 0
		.amdhsa_exception_fp_ieee_inexact 0
		.amdhsa_exception_int_div_zero 0
	.end_amdhsa_kernel
	.section	.text._ZN9rocsolver6v33100L22bdsqr_update_endpointsIddEEviPT0_lPiS3_lS4_,"axG",@progbits,_ZN9rocsolver6v33100L22bdsqr_update_endpointsIddEEviPT0_lPiS3_lS4_,comdat
.Lfunc_end22:
	.size	_ZN9rocsolver6v33100L22bdsqr_update_endpointsIddEEviPT0_lPiS3_lS4_, .Lfunc_end22-_ZN9rocsolver6v33100L22bdsqr_update_endpointsIddEEviPT0_lPiS3_lS4_
                                        ; -- End function
	.section	.AMDGPU.csdata,"",@progbits
; Kernel info:
; codeLenInByte = 932
; NumSgprs: 30
; NumVgprs: 16
; NumAgprs: 0
; TotalNumVgprs: 16
; ScratchSize: 0
; MemoryBound: 0
; FloatMode: 240
; IeeeMode: 1
; LDSByteSize: 0 bytes/workgroup (compile time only)
; SGPRBlocks: 3
; VGPRBlocks: 1
; NumSGPRsForWavesPerEU: 30
; NumVGPRsForWavesPerEU: 16
; AccumOffset: 16
; Occupancy: 8
; WaveLimiterHint : 1
; COMPUTE_PGM_RSRC2:SCRATCH_EN: 0
; COMPUTE_PGM_RSRC2:USER_SGPR: 6
; COMPUTE_PGM_RSRC2:TRAP_HANDLER: 0
; COMPUTE_PGM_RSRC2:TGID_X_EN: 1
; COMPUTE_PGM_RSRC2:TGID_Y_EN: 1
; COMPUTE_PGM_RSRC2:TGID_Z_EN: 1
; COMPUTE_PGM_RSRC2:TIDIG_COMP_CNT: 0
; COMPUTE_PGM_RSRC3_GFX90A:ACCUM_OFFSET: 3
; COMPUTE_PGM_RSRC3_GFX90A:TG_SPLIT: 0
	.section	.text._ZN9rocsolver6v33100L19bdsqr_chk_completedIddEEviiPiPT0_lS2_,"axG",@progbits,_ZN9rocsolver6v33100L19bdsqr_chk_completedIddEEviiPiPT0_lS2_,comdat
	.globl	_ZN9rocsolver6v33100L19bdsqr_chk_completedIddEEviiPiPT0_lS2_ ; -- Begin function _ZN9rocsolver6v33100L19bdsqr_chk_completedIddEEviiPiPT0_lS2_
	.p2align	8
	.type	_ZN9rocsolver6v33100L19bdsqr_chk_completedIddEEviiPiPT0_lS2_,@function
_ZN9rocsolver6v33100L19bdsqr_chk_completedIddEEviiPiPT0_lS2_: ; @_ZN9rocsolver6v33100L19bdsqr_chk_completedIddEEviiPiPT0_lS2_
; %bb.0:
	s_load_dwordx8 s[8:15], s[4:5], 0x8
	s_mov_b32 s2, s7
	s_ashr_i32 s3, s7, 31
	s_lshl_b64 s[0:1], s[2:3], 2
	s_waitcnt lgkmcnt(0)
	s_add_u32 s0, s14, s0
	s_addc_u32 s1, s15, s1
	s_load_dword s6, s[0:1], 0x8
	s_waitcnt lgkmcnt(0)
	s_cmp_lg_u32 s6, 0
	s_cbranch_scc0 .LBB23_2
.LBB23_1:
	s_endpgm
.LBB23_2:
	s_mul_i32 s6, s2, s13
	s_mul_hi_u32 s7, s2, s12
	s_add_i32 s6, s7, s6
	s_mul_i32 s3, s3, s12
	s_add_i32 s7, s6, s3
	s_mul_i32 s6, s2, s12
	s_lshl_b64 s[6:7], s[6:7], 3
	s_add_u32 s6, s10, s6
	s_addc_u32 s7, s11, s7
	s_load_dwordx4 s[16:19], s[6:7], 0x10
	s_load_dword s3, s[14:15], 0x4
	v_mov_b32_e32 v2, 0
	v_mov_b32_e32 v3, v2
	s_waitcnt lgkmcnt(0)
	v_mov_b32_e32 v0, s18
	v_mov_b32_e32 v1, s19
	v_add_f64 v[0:1], s[16:17], v[0:1]
	v_cvt_i32_f64_e32 v4, v[0:1]
	v_cmp_ge_i32_e32 vcc, s3, v4
	v_cvt_f64_i32_e32 v[0:1], v4
	global_store_dwordx4 v2, v[0:3], s[6:7] offset:16
	s_cbranch_vccnz .LBB23_6
; %bb.3:
	s_mov_b64 s[6:7], 0
	v_mov_b32_e32 v5, s3
.LBB23_4:                               ; =>This Inner Loop Header: Depth=1
	global_atomic_cmpswap v5, v2, v[4:5], s[14:15] offset:4 glc
	s_waitcnt vmcnt(0)
	v_cmp_ge_i32_e32 vcc, v5, v4
	s_or_b64 s[6:7], vcc, s[6:7]
	s_andn2_b64 exec, exec, s[6:7]
	s_cbranch_execnz .LBB23_4
; %bb.5:
	s_or_b64 exec, exec, s[6:7]
.LBB23_6:
	v_cmp_gt_i32_e32 vcc, 1, v4
	s_cbranch_vccnz .LBB23_14
; %bb.7:
	s_load_dwordx2 s[4:5], s[4:5], 0x0
	v_mov_b32_e32 v0, 0
	s_waitcnt lgkmcnt(0)
	s_mul_i32 s2, s2, s4
	s_lshl_b32 s2, s2, 1
	s_ashr_i32 s3, s2, 31
	s_lshl_b64 s[2:3], s[2:3], 2
	s_add_u32 s2, s2, s8
	s_addc_u32 s3, s3, s9
	s_add_u32 s2, s2, 12
	s_addc_u32 s3, s3, 0
	s_branch .LBB23_9
.LBB23_8:                               ;   in Loop: Header=BB23_9 Depth=1
	v_add_u32_e32 v4, -1, v4
	s_add_u32 s2, s2, 16
	s_addc_u32 s3, s3, 0
	s_mov_b64 s[6:7], 0
	v_cmp_eq_u32_e64 s[8:9], 0, v4
	s_andn2_b64 vcc, exec, s[8:9]
	s_cbranch_vccz .LBB23_13
.LBB23_9:                               ; =>This Inner Loop Header: Depth=1
	global_load_dwordx2 v[2:3], v0, s[2:3] offset:-8
	s_mov_b64 s[8:9], -1
                                        ; implicit-def: $sgpr6_sgpr7
	s_waitcnt vmcnt(0)
	v_cmp_ge_i32_e32 vcc, v2, v3
	s_cbranch_vccnz .LBB23_11
; %bb.10:                               ;   in Loop: Header=BB23_9 Depth=1
	global_load_dword v1, v0, s[2:3]
	s_mov_b64 s[6:7], -1
	s_waitcnt vmcnt(0)
	v_cmp_le_i32_e64 s[8:9], s5, v1
.LBB23_11:                              ;   in Loop: Header=BB23_9 Depth=1
	s_andn2_b64 vcc, exec, s[8:9]
	s_cbranch_vccz .LBB23_8
; %bb.12:
                                        ; implicit-def: $vgpr4
                                        ; implicit-def: $sgpr2_sgpr3
.LBB23_13:
	s_xor_b64 s[2:3], s[6:7], -1
	s_and_b64 vcc, exec, s[2:3]
	s_cbranch_vccz .LBB23_1
	s_branch .LBB23_15
.LBB23_14:
	s_cbranch_execz .LBB23_1
.LBB23_15:
	s_mov_b64 s[2:3], exec
	v_mov_b32_e32 v0, 0
	v_mov_b32_e32 v1, 1
	global_store_dword v0, v1, s[0:1] offset:8
	v_mbcnt_lo_u32_b32 v1, s2, 0
	v_mbcnt_hi_u32_b32 v1, s3, v1
	v_cmp_eq_u32_e32 vcc, 0, v1
	s_and_saveexec_b64 s[0:1], vcc
	s_cbranch_execz .LBB23_1
; %bb.16:
	s_bcnt1_i32_b64 s0, s[2:3]
	v_mov_b32_e32 v1, s0
	global_atomic_add v0, v1, s[14:15]
	s_endpgm
	.section	.rodata,"a",@progbits
	.p2align	6, 0x0
	.amdhsa_kernel _ZN9rocsolver6v33100L19bdsqr_chk_completedIddEEviiPiPT0_lS2_
		.amdhsa_group_segment_fixed_size 0
		.amdhsa_private_segment_fixed_size 0
		.amdhsa_kernarg_size 40
		.amdhsa_user_sgpr_count 6
		.amdhsa_user_sgpr_private_segment_buffer 1
		.amdhsa_user_sgpr_dispatch_ptr 0
		.amdhsa_user_sgpr_queue_ptr 0
		.amdhsa_user_sgpr_kernarg_segment_ptr 1
		.amdhsa_user_sgpr_dispatch_id 0
		.amdhsa_user_sgpr_flat_scratch_init 0
		.amdhsa_user_sgpr_kernarg_preload_length 0
		.amdhsa_user_sgpr_kernarg_preload_offset 0
		.amdhsa_user_sgpr_private_segment_size 0
		.amdhsa_uses_dynamic_stack 0
		.amdhsa_system_sgpr_private_segment_wavefront_offset 0
		.amdhsa_system_sgpr_workgroup_id_x 1
		.amdhsa_system_sgpr_workgroup_id_y 1
		.amdhsa_system_sgpr_workgroup_id_z 0
		.amdhsa_system_sgpr_workgroup_info 0
		.amdhsa_system_vgpr_workitem_id 0
		.amdhsa_next_free_vgpr 6
		.amdhsa_next_free_sgpr 20
		.amdhsa_accum_offset 8
		.amdhsa_reserve_vcc 1
		.amdhsa_reserve_flat_scratch 0
		.amdhsa_float_round_mode_32 0
		.amdhsa_float_round_mode_16_64 0
		.amdhsa_float_denorm_mode_32 3
		.amdhsa_float_denorm_mode_16_64 3
		.amdhsa_dx10_clamp 1
		.amdhsa_ieee_mode 1
		.amdhsa_fp16_overflow 0
		.amdhsa_tg_split 0
		.amdhsa_exception_fp_ieee_invalid_op 0
		.amdhsa_exception_fp_denorm_src 0
		.amdhsa_exception_fp_ieee_div_zero 0
		.amdhsa_exception_fp_ieee_overflow 0
		.amdhsa_exception_fp_ieee_underflow 0
		.amdhsa_exception_fp_ieee_inexact 0
		.amdhsa_exception_int_div_zero 0
	.end_amdhsa_kernel
	.section	.text._ZN9rocsolver6v33100L19bdsqr_chk_completedIddEEviiPiPT0_lS2_,"axG",@progbits,_ZN9rocsolver6v33100L19bdsqr_chk_completedIddEEviiPiPT0_lS2_,comdat
.Lfunc_end23:
	.size	_ZN9rocsolver6v33100L19bdsqr_chk_completedIddEEviiPiPT0_lS2_, .Lfunc_end23-_ZN9rocsolver6v33100L19bdsqr_chk_completedIddEEviiPiPT0_lS2_
                                        ; -- End function
	.section	.AMDGPU.csdata,"",@progbits
; Kernel info:
; codeLenInByte = 436
; NumSgprs: 24
; NumVgprs: 6
; NumAgprs: 0
; TotalNumVgprs: 6
; ScratchSize: 0
; MemoryBound: 0
; FloatMode: 240
; IeeeMode: 1
; LDSByteSize: 0 bytes/workgroup (compile time only)
; SGPRBlocks: 2
; VGPRBlocks: 0
; NumSGPRsForWavesPerEU: 24
; NumVGPRsForWavesPerEU: 6
; AccumOffset: 8
; Occupancy: 8
; WaveLimiterHint : 0
; COMPUTE_PGM_RSRC2:SCRATCH_EN: 0
; COMPUTE_PGM_RSRC2:USER_SGPR: 6
; COMPUTE_PGM_RSRC2:TRAP_HANDLER: 0
; COMPUTE_PGM_RSRC2:TGID_X_EN: 1
; COMPUTE_PGM_RSRC2:TGID_Y_EN: 1
; COMPUTE_PGM_RSRC2:TGID_Z_EN: 0
; COMPUTE_PGM_RSRC2:TIDIG_COMP_CNT: 0
; COMPUTE_PGM_RSRC3_GFX90A:ACCUM_OFFSET: 1
; COMPUTE_PGM_RSRC3_GFX90A:TG_SPLIT: 0
	.section	.text._ZN9rocsolver6v33100L14bdsqr_finalizeIddPdS2_S2_EEviiiiPT0_lS4_lT1_iilT2_iilT3_iilPiS8_S8_,"axG",@progbits,_ZN9rocsolver6v33100L14bdsqr_finalizeIddPdS2_S2_EEviiiiPT0_lS4_lT1_iilT2_iilT3_iilPiS8_S8_,comdat
	.globl	_ZN9rocsolver6v33100L14bdsqr_finalizeIddPdS2_S2_EEviiiiPT0_lS4_lT1_iilT2_iilT3_iilPiS8_S8_ ; -- Begin function _ZN9rocsolver6v33100L14bdsqr_finalizeIddPdS2_S2_EEviiiiPT0_lS4_lT1_iilT2_iilT3_iilPiS8_S8_
	.p2align	8
	.type	_ZN9rocsolver6v33100L14bdsqr_finalizeIddPdS2_S2_EEviiiiPT0_lS4_lT1_iilT2_iilT3_iilPiS8_S8_,@function
_ZN9rocsolver6v33100L14bdsqr_finalizeIddPdS2_S2_EEviiiiPT0_lS4_lT1_iilT2_iilT3_iilPiS8_S8_: ; @_ZN9rocsolver6v33100L14bdsqr_finalizeIddPdS2_S2_EEviiiiPT0_lS4_lT1_iilT2_iilT3_iilPiS8_S8_
; %bb.0:
	s_add_u32 flat_scratch_lo, s6, s10
	s_load_dwordx8 s[36:43], s[4:5], 0x70
	s_addc_u32 flat_scratch_hi, s7, 0
	s_add_u32 s0, s0, s10
	s_addc_u32 s1, s1, 0
	s_mov_b32 s12, s9
	s_ashr_i32 s13, s9, 31
	s_lshl_b64 s[26:27], s[12:13], 2
	s_waitcnt lgkmcnt(0)
	s_add_u32 s6, s42, s26
	s_addc_u32 s7, s43, s27
	s_load_dword s6, s[6:7], 0x8
	s_mov_b32 s32, 0
	s_waitcnt lgkmcnt(0)
	s_cmp_gt_i32 s6, 1
	s_cbranch_scc1 .LBB24_260
; %bb.1:
	s_load_dwordx2 s[6:7], s[4:5], 0x9c
	s_load_dwordx8 s[44:51], s[4:5], 0x30
	s_load_dwordx8 s[52:59], s[4:5], 0x10
	s_mov_b64 s[28:29], 0
	s_mov_b64 s[34:35], 0
	s_waitcnt lgkmcnt(0)
	s_and_b32 s7, s7, 0xffff
	s_cmp_eq_u64 s[44:45], 0
	s_cbranch_scc1 .LBB24_3
; %bb.2:
	s_mul_i32 s10, s12, s49
	s_mul_hi_u32 s11, s12, s48
	s_add_i32 s10, s11, s10
	s_mul_i32 s11, s13, s48
	s_add_i32 s11, s10, s11
	s_mul_i32 s10, s12, s48
	s_ashr_i32 s9, s46, 31
	s_lshl_b64 s[10:11], s[10:11], 3
	s_mov_b32 s8, s46
	s_add_u32 s10, s44, s10
	s_addc_u32 s11, s45, s11
	s_lshl_b64 s[8:9], s[8:9], 3
	s_add_u32 s34, s10, s8
	s_addc_u32 s35, s11, s9
.LBB24_3:
	s_load_dwordx2 s[42:43], s[4:5], 0x50
	s_load_dwordx4 s[8:11], s[4:5], 0x58
	s_cmp_eq_u64 s[50:51], 0
	s_cbranch_scc1 .LBB24_5
; %bb.4:
	s_waitcnt lgkmcnt(0)
	s_mul_i32 s9, s12, s9
	s_mul_hi_u32 s16, s12, s8
	s_add_i32 s9, s16, s9
	s_mul_i32 s16, s13, s8
	s_add_i32 s9, s9, s16
	s_mul_i32 s8, s12, s8
	s_ashr_i32 s15, s42, 31
	s_lshl_b64 s[8:9], s[8:9], 3
	s_mov_b32 s14, s42
	s_add_u32 s16, s50, s8
	s_addc_u32 s17, s51, s9
	s_lshl_b64 s[8:9], s[14:15], 3
	s_add_u32 s28, s16, s8
	s_addc_u32 s29, s17, s9
.LBB24_5:
	s_load_dwordx2 s[60:61], s[4:5], 0x68
	s_waitcnt lgkmcnt(0)
	s_cmp_eq_u64 s[10:11], 0
	s_mov_b64 s[44:45], 0
	s_cbranch_scc1 .LBB24_7
; %bb.6:
	s_mul_i32 s14, s12, s37
	s_mul_hi_u32 s15, s12, s36
	s_add_i32 s14, s15, s14
	s_mul_i32 s15, s13, s36
	s_add_i32 s15, s14, s15
	s_mul_i32 s14, s12, s36
	s_ashr_i32 s9, s60, 31
	s_lshl_b64 s[14:15], s[14:15], 3
	s_mov_b32 s8, s60
	s_add_u32 s10, s10, s14
	s_addc_u32 s11, s11, s15
	s_lshl_b64 s[8:9], s[8:9], 3
	s_add_u32 s44, s10, s8
	s_addc_u32 s45, s11, s9
.LBB24_7:
	s_mul_i32 s8, s12, s55
	s_mul_hi_u32 s9, s12, s54
	s_add_i32 s8, s9, s8
	s_mul_i32 s9, s13, s54
	s_add_i32 s9, s8, s9
	s_mul_i32 s8, s12, s54
	s_lshl_b64 s[54:55], s[8:9], 3
	s_add_u32 s36, s52, s54
	s_load_dwordx4 s[48:51], s[4:5], 0x0
	s_addc_u32 s37, s53, s55
	s_lshr_b32 s8, s6, 16
	s_and_b32 s42, s6, 0xffff
	v_bfe_u32 v43, v0, 10, 10
	v_bfe_u32 v44, v0, 20, 10
	s_mul_i32 s60, s8, s42
	v_and_b32_e32 v42, 0x3ff, v0
	v_mul_u32_u24_e32 v1, s42, v43
	v_mul_lo_u32 v0, s60, v44
	v_add3_u32 v41, v1, v42, v0
	s_and_b32 s6, s7, 0xffff
	s_mul_i32 s60, s60, s6
	s_waitcnt lgkmcnt(0)
	s_cmp_lt_i32 s48, 1
	v_cmp_eq_u32_e64 s[6:7], 0, v41
	s_cbranch_scc1 .LBB24_22
; %bb.8:
	s_mul_i32 s8, s12, s59
	s_mul_hi_u32 s9, s12, s58
	s_add_i32 s8, s9, s8
	s_mul_i32 s9, s13, s58
	s_add_i32 s9, s8, s9
	s_mul_i32 s8, s12, s58
	s_lshl_b64 s[8:9], s[8:9], 3
	s_add_u32 s13, s56, s8
	s_addc_u32 s22, s57, s9
	s_add_i32 s23, s48, -1
	s_cmp_lg_u32 s49, 0
	s_cselect_b64 s[10:11], -1, 0
	s_mov_b32 s15, 0
	v_cndmask_b32_e64 v0, 0, 1, s[10:11]
	v_cmp_gt_u32_e64 s[8:9], s49, v41
	s_ashr_i32 s24, s47, 31
	s_mov_b32 s25, s47
	v_mov_b32_e32 v2, 0
	v_cmp_ne_u32_e64 s[10:11], 1, v0
	v_mov_b32_e32 v3, s35
	s_mov_b32 s14, s15
	s_mov_b32 s46, s15
	s_branch .LBB24_11
.LBB24_9:                               ;   in Loop: Header=BB24_11 Depth=1
	s_or_b64 exec, exec, s[18:19]
.LBB24_10:                              ;   in Loop: Header=BB24_11 Depth=1
	s_add_i32 s14, s14, 1
	s_cmp_eq_u32 s14, s48
	s_cbranch_scc1 .LBB24_23
.LBB24_11:                              ; =>This Loop Header: Depth=1
                                        ;     Child Loop BB24_18 Depth 2
	s_cmp_ge_i32 s14, s23
	s_cbranch_scc1 .LBB24_14
; %bb.12:                               ;   in Loop: Header=BB24_11 Depth=1
	s_lshl_b64 s[16:17], s[14:15], 3
	s_add_u32 s16, s13, s16
	s_addc_u32 s17, s22, s17
	global_load_dwordx2 v[0:1], v2, s[16:17]
	s_waitcnt vmcnt(0)
	v_cmp_eq_f64_e32 vcc, 0, v[0:1]
	s_cbranch_vccnz .LBB24_14
; %bb.13:                               ;   in Loop: Header=BB24_11 Depth=1
	s_add_i32 s46, s46, 1
.LBB24_14:                              ;   in Loop: Header=BB24_11 Depth=1
	s_lshl_b64 s[16:17], s[14:15], 3
	s_add_u32 s16, s36, s16
	s_addc_u32 s17, s37, s17
	global_load_dwordx2 v[0:1], v2, s[16:17]
	s_waitcnt vmcnt(0)
	v_cmp_ngt_f64_e32 vcc, 0, v[0:1]
	s_cbranch_vccnz .LBB24_10
; %bb.15:                               ;   in Loop: Header=BB24_11 Depth=1
	s_and_b64 vcc, exec, s[10:11]
	s_cbranch_vccnz .LBB24_20
; %bb.16:                               ;   in Loop: Header=BB24_11 Depth=1
	s_and_saveexec_b64 s[18:19], s[8:9]
	s_cbranch_execz .LBB24_19
; %bb.17:                               ;   in Loop: Header=BB24_11 Depth=1
	s_mov_b64 s[20:21], 0
	v_pk_mov_b32 v[0:1], s[14:15], s[14:15] op_sel:[0,1]
	v_mov_b32_e32 v4, v41
.LBB24_18:                              ;   Parent Loop BB24_11 Depth=1
                                        ; =>  This Inner Loop Header: Depth=2
	v_mad_u64_u32 v[6:7], s[30:31], v4, s25, v[0:1]
	v_mov_b32_e32 v8, v7
	v_mad_u64_u32 v[8:9], s[30:31], v4, s24, v[8:9]
	v_mov_b32_e32 v7, v8
	v_lshlrev_b64 v[6:7], 3, v[6:7]
	v_add_co_u32_e32 v6, vcc, s34, v6
	v_addc_co_u32_e32 v7, vcc, v3, v7, vcc
	flat_load_dwordx2 v[8:9], v[6:7]
	v_add_u32_e32 v4, s60, v4
	v_cmp_le_u32_e32 vcc, s49, v4
	s_or_b64 s[20:21], vcc, s[20:21]
	s_waitcnt vmcnt(0) lgkmcnt(0)
	v_xor_b32_e32 v9, 0x80000000, v9
	flat_store_dwordx2 v[6:7], v[8:9]
	s_andn2_b64 exec, exec, s[20:21]
	s_cbranch_execnz .LBB24_18
.LBB24_19:                              ;   in Loop: Header=BB24_11 Depth=1
	s_or_b64 exec, exec, s[18:19]
	s_waitcnt lgkmcnt(0)
	s_barrier
.LBB24_20:                              ;   in Loop: Header=BB24_11 Depth=1
	s_and_saveexec_b64 s[18:19], s[6:7]
	s_cbranch_execz .LBB24_9
; %bb.21:                               ;   in Loop: Header=BB24_11 Depth=1
	global_load_dwordx2 v[0:1], v2, s[16:17]
	s_waitcnt vmcnt(0)
	v_xor_b32_e32 v1, 0x80000000, v1
	global_store_dwordx2 v2, v[0:1], s[16:17]
	s_branch .LBB24_9
.LBB24_22:
	s_mov_b32 s46, 0
.LBB24_23:
	s_cmp_lt_i32 s46, 1
	s_mov_b64 s[6:7], -1
	s_cbranch_scc0 .LBB24_257
; %bb.24:
	s_mul_i32 s6, s12, s48
	s_lshl_b32 s6, s6, 1
	s_ashr_i32 s7, s6, 31
	s_lshl_b64 s[6:7], s[6:7], 2
	s_add_u32 s6, s40, s6
	s_addc_u32 s7, s41, s7
	s_cmp_lg_u64 s[40:41], 0
	s_cselect_b32 s57, s7, 0
	s_cselect_b32 s56, s6, 0
	s_mov_b64 s[64:65], 0
	s_cmp_lg_u64 s[56:57], 0
	s_barrier
	s_cbranch_scc0 .LBB24_38
; %bb.25:
	s_or_b32 s6, s50, s49
	s_or_b32 s8, s6, s51
	s_cmp_gt_i32 s48, 0
	s_cselect_b64 s[62:63], -1, 0
	s_cmp_lg_u64 s[52:53], 0
	s_cselect_b64 s[6:7], -1, 0
	s_and_b64 s[40:41], s[62:63], s[6:7]
	s_cmp_eq_u32 s8, 0
	s_cbranch_scc1 .LBB24_39
; %bb.26:
	s_mov_b64 s[66:67], -1
	s_mov_b64 s[58:59], 0
	s_and_b64 vcc, exec, s[40:41]
	s_cbranch_vccz .LBB24_117
; %bb.27:
	v_cmp_gt_u32_e32 vcc, s48, v41
	s_barrier
	s_and_saveexec_b64 s[6:7], vcc
	s_cbranch_execz .LBB24_30
; %bb.28:
	s_mov_b64 s[8:9], 0
	v_mov_b32_e32 v1, 0
	v_mov_b32_e32 v2, s57
	;; [unrolled: 1-line block ×3, first 2 shown]
.LBB24_29:                              ; =>This Inner Loop Header: Depth=1
	v_lshlrev_b64 v[4:5], 2, v[0:1]
	v_add_co_u32_e32 v4, vcc, s56, v4
	v_addc_co_u32_e32 v5, vcc, v2, v5, vcc
	global_store_dword v[4:5], v0, off
	v_add_u32_e32 v0, s60, v0
	v_cmp_le_u32_e32 vcc, s48, v0
	s_or_b64 s[8:9], vcc, s[8:9]
	s_andn2_b64 exec, exec, s[8:9]
	s_cbranch_execnz .LBB24_29
.LBB24_30:
	s_or_b64 exec, exec, s[6:7]
	v_or3_b32 v0, v43, v44, v42
	v_cmp_eq_u32_e32 vcc, 0, v0
	s_barrier
	s_and_saveexec_b64 s[6:7], vcc
	s_cbranch_execz .LBB24_101
; %bb.31:
	s_cmpk_lt_i32 s48, 0x2be
	s_cbranch_scc1 .LBB24_40
; %bb.32:
	s_add_u32 s8, s56, 0xaf4
	s_addc_u32 s9, s57, 0
	s_mov_b64 s[10:11], 0x2bd
	s_mov_b32 s13, 0
	v_mov_b32_e32 v4, 0
	v_mov_b32_e32 v5, 0x1000
	s_mov_b64 s[14:15], s[36:37]
	s_branch .LBB24_34
.LBB24_33:                              ;   in Loop: Header=BB24_34 Depth=1
	s_lshl_b64 s[16:17], s[22:23], 3
	s_add_u32 s16, s36, s16
	s_addc_u32 s17, s37, s17
	global_store_dwordx2 v4, v[0:1], s[16:17]
	s_lshl_b64 s[16:17], s[22:23], 2
	s_add_u32 s16, s56, s16
	s_addc_u32 s17, s57, s17
	s_add_u32 s10, s10, 1
	s_addc_u32 s11, s11, 0
	;; [unrolled: 2-line block ×4, first 2 shown]
	s_cmp_eq_u32 s10, s48
	global_store_dword v4, v6, s[16:17]
	s_cbranch_scc1 .LBB24_40
.LBB24_34:                              ; =>This Loop Header: Depth=1
                                        ;     Child Loop BB24_36 Depth 2
	s_mov_b32 s12, s10
	s_lshl_b64 s[16:17], s[12:13], 3
	s_add_u32 s16, s36, s16
	s_addc_u32 s17, s37, s17
	s_lshl_b64 s[18:19], s[12:13], 2
	s_add_u32 s18, s56, s18
	s_addc_u32 s19, s57, s19
	global_load_dwordx2 v[0:1], v4, s[16:17]
	global_load_dword v6, v4, s[18:19]
	s_mov_b64 s[20:21], s[8:9]
	s_mov_b64 s[16:17], s[14:15]
	;; [unrolled: 1-line block ×3, first 2 shown]
	s_branch .LBB24_36
.LBB24_35:                              ;   in Loop: Header=BB24_36 Depth=2
	global_load_dword v7, v4, s[20:21] offset:-2804
	s_add_u32 s30, s20, 0xfffff50c
	s_addc_u32 s31, s21, -1
	s_add_u32 s22, s18, 0xfffffd43
	s_addc_u32 s23, s19, -1
	global_store_dwordx2 v5, v[2:3], s[16:17] offset:1512
	s_add_u32 s16, s16, 0xffffea18
	s_addc_u32 s17, s17, -1
	s_cmpk_lt_i32 s18, 0x57a
	s_mov_b64 s[18:19], s[22:23]
	s_cselect_b64 s[24:25], -1, 0
	s_waitcnt vmcnt(1)
	global_store_dword v4, v7, s[20:21]
	s_mov_b64 s[20:21], s[30:31]
	s_andn2_b64 vcc, exec, s[24:25]
	s_cbranch_vccz .LBB24_33
.LBB24_36:                              ;   Parent Loop BB24_34 Depth=1
                                        ; =>  This Inner Loop Header: Depth=2
	global_load_dwordx2 v[2:3], v4, s[16:17]
	s_mov_b64 s[24:25], -1
	s_waitcnt vmcnt(0)
	v_cmp_nlt_f64_e32 vcc, v[2:3], v[0:1]
	s_cbranch_vccz .LBB24_35
; %bb.37:                               ;   in Loop: Header=BB24_36 Depth=2
                                        ; implicit-def: $sgpr16_sgpr17
                                        ; implicit-def: $sgpr20_sgpr21
	s_mov_b64 s[22:23], s[18:19]
	s_andn2_b64 vcc, exec, s[24:25]
	s_cbranch_vccnz .LBB24_36
	s_branch .LBB24_33
.LBB24_38:
	s_branch .LBB24_233
.LBB24_39:
	s_mov_b64 s[58:59], 0
	s_cbranch_execnz .LBB24_142
	s_branch .LBB24_228
.LBB24_40:
	s_cmpk_lt_i32 s48, 0x12e
	s_cbranch_scc1 .LBB24_49
; %bb.41:
	s_add_u32 s8, s56, 0x4b4
	s_addc_u32 s9, s57, 0
	s_mov_b64 s[10:11], 0x12d
	s_mov_b32 s13, 0
	v_mov_b32_e32 v4, 0
	s_mov_b64 s[14:15], s[36:37]
	s_branch .LBB24_43
.LBB24_42:                              ;   in Loop: Header=BB24_43 Depth=1
	s_lshl_b64 s[18:19], s[16:17], 3
	s_add_u32 s18, s36, s18
	s_addc_u32 s19, s37, s19
	s_lshl_b64 s[16:17], s[16:17], 2
	s_add_u32 s16, s56, s16
	s_addc_u32 s17, s57, s17
	s_add_u32 s10, s10, 1
	s_addc_u32 s11, s11, 0
	;; [unrolled: 2-line block ×4, first 2 shown]
	s_cmp_lg_u32 s10, s48
	global_store_dwordx2 v4, v[0:1], s[18:19]
	global_store_dword v4, v5, s[16:17]
	s_cbranch_scc0 .LBB24_49
.LBB24_43:                              ; =>This Loop Header: Depth=1
                                        ;     Child Loop BB24_45 Depth 2
	s_mov_b32 s12, s10
	s_lshl_b64 s[16:17], s[12:13], 3
	s_add_u32 s16, s36, s16
	s_addc_u32 s17, s37, s17
	s_lshl_b64 s[18:19], s[12:13], 2
	s_add_u32 s18, s56, s18
	s_addc_u32 s19, s57, s19
	global_load_dwordx2 v[0:1], v4, s[16:17]
	global_load_dword v5, v4, s[18:19]
	s_mov_b64 s[18:19], s[14:15]
	s_mov_b64 s[20:21], s[8:9]
	;; [unrolled: 1-line block ×3, first 2 shown]
	s_branch .LBB24_45
.LBB24_44:                              ;   in Loop: Header=BB24_45 Depth=2
	global_load_dword v6, v4, s[20:21] offset:-1204
	s_add_u32 s64, s20, 0xfffffb4c
	s_addc_u32 s65, s21, -1
	s_add_u32 s24, s16, 0xfffffed3
	s_addc_u32 s25, s17, -1
	global_store_dwordx2 v4, v[2:3], s[18:19] offset:2408
	s_add_u32 s18, s18, 0xfffff698
	s_addc_u32 s19, s19, -1
	s_cmpk_lt_i32 s16, 0x25a
	s_mov_b64 s[22:23], 0
	s_mov_b64 s[16:17], s[24:25]
	s_cselect_b64 s[30:31], -1, 0
	s_waitcnt vmcnt(1)
	global_store_dword v4, v6, s[20:21]
	s_mov_b64 s[20:21], s[64:65]
	s_andn2_b64 vcc, exec, s[30:31]
	s_cbranch_vccz .LBB24_47
.LBB24_45:                              ;   Parent Loop BB24_43 Depth=1
                                        ; =>  This Inner Loop Header: Depth=2
	global_load_dwordx2 v[2:3], v4, s[18:19]
	s_mov_b64 s[22:23], -1
	s_waitcnt vmcnt(0)
	v_cmp_nlt_f64_e32 vcc, v[2:3], v[0:1]
	s_cbranch_vccz .LBB24_44
; %bb.46:                               ;   in Loop: Header=BB24_43 Depth=1
                                        ; implicit-def: $sgpr20_sgpr21
                                        ; implicit-def: $sgpr18_sgpr19
                                        ; implicit-def: $sgpr24_sgpr25
.LBB24_47:                              ;   in Loop: Header=BB24_43 Depth=1
	s_andn2_b64 vcc, exec, s[22:23]
	s_cbranch_vccz .LBB24_42
; %bb.48:                               ;   in Loop: Header=BB24_43 Depth=1
	s_bfe_i64 s[16:17], s[24:25], 0x200000
	s_branch .LBB24_42
.LBB24_49:
	s_cmpk_lt_i32 s48, 0x85
	s_cbranch_scc1 .LBB24_58
; %bb.50:
	s_add_u32 s8, s56, 0x210
	s_addc_u32 s9, s57, 0
	s_mov_b64 s[10:11], 0x84
	s_mov_b32 s13, 0
	v_mov_b32_e32 v4, 0
	s_mov_b64 s[14:15], s[36:37]
	s_branch .LBB24_52
.LBB24_51:                              ;   in Loop: Header=BB24_52 Depth=1
	s_lshl_b64 s[18:19], s[16:17], 3
	s_add_u32 s18, s36, s18
	s_addc_u32 s19, s37, s19
	s_lshl_b64 s[16:17], s[16:17], 2
	s_add_u32 s16, s56, s16
	s_addc_u32 s17, s57, s17
	s_add_u32 s10, s10, 1
	s_addc_u32 s11, s11, 0
	;; [unrolled: 2-line block ×4, first 2 shown]
	s_cmp_lg_u32 s10, s48
	global_store_dwordx2 v4, v[0:1], s[18:19]
	global_store_dword v4, v5, s[16:17]
	s_cbranch_scc0 .LBB24_58
.LBB24_52:                              ; =>This Loop Header: Depth=1
                                        ;     Child Loop BB24_54 Depth 2
	s_mov_b32 s12, s10
	s_lshl_b64 s[16:17], s[12:13], 3
	s_add_u32 s16, s36, s16
	s_addc_u32 s17, s37, s17
	s_lshl_b64 s[18:19], s[12:13], 2
	s_add_u32 s18, s56, s18
	s_addc_u32 s19, s57, s19
	global_load_dwordx2 v[0:1], v4, s[16:17]
	global_load_dword v5, v4, s[18:19]
	s_mov_b64 s[18:19], s[14:15]
	s_mov_b64 s[20:21], s[8:9]
	;; [unrolled: 1-line block ×3, first 2 shown]
	s_branch .LBB24_54
.LBB24_53:                              ;   in Loop: Header=BB24_54 Depth=2
	global_load_dword v6, v4, s[20:21] offset:-528
	s_add_u32 s64, s20, 0xfffffdf0
	s_addc_u32 s65, s21, -1
	s_add_u32 s24, s16, 0xffffff7c
	s_addc_u32 s25, s17, -1
	global_store_dwordx2 v4, v[2:3], s[18:19] offset:1056
	s_add_u32 s18, s18, 0xfffffbe0
	s_addc_u32 s19, s19, -1
	s_cmpk_lt_i32 s16, 0x108
	s_mov_b64 s[22:23], 0
	s_mov_b64 s[16:17], s[24:25]
	s_cselect_b64 s[30:31], -1, 0
	s_waitcnt vmcnt(1)
	global_store_dword v4, v6, s[20:21]
	s_mov_b64 s[20:21], s[64:65]
	s_andn2_b64 vcc, exec, s[30:31]
	s_cbranch_vccz .LBB24_56
.LBB24_54:                              ;   Parent Loop BB24_52 Depth=1
                                        ; =>  This Inner Loop Header: Depth=2
	global_load_dwordx2 v[2:3], v4, s[18:19]
	s_mov_b64 s[22:23], -1
	s_waitcnt vmcnt(0)
	v_cmp_nlt_f64_e32 vcc, v[2:3], v[0:1]
	s_cbranch_vccz .LBB24_53
; %bb.55:                               ;   in Loop: Header=BB24_52 Depth=1
                                        ; implicit-def: $sgpr20_sgpr21
                                        ; implicit-def: $sgpr18_sgpr19
                                        ; implicit-def: $sgpr24_sgpr25
.LBB24_56:                              ;   in Loop: Header=BB24_52 Depth=1
	s_andn2_b64 vcc, exec, s[22:23]
	s_cbranch_vccz .LBB24_51
; %bb.57:                               ;   in Loop: Header=BB24_52 Depth=1
	s_bfe_i64 s[16:17], s[24:25], 0x200000
	s_branch .LBB24_51
.LBB24_58:
	s_cmp_lt_i32 s48, 58
	s_cbranch_scc1 .LBB24_67
; %bb.59:
	s_add_u32 s8, s56, 0xe4
	s_addc_u32 s9, s57, 0
	s_mov_b64 s[10:11], 57
	s_mov_b32 s13, 0
	v_mov_b32_e32 v4, 0
	s_mov_b64 s[14:15], s[36:37]
	s_branch .LBB24_61
.LBB24_60:                              ;   in Loop: Header=BB24_61 Depth=1
	s_lshl_b64 s[18:19], s[16:17], 3
	s_add_u32 s18, s36, s18
	s_addc_u32 s19, s37, s19
	s_lshl_b64 s[16:17], s[16:17], 2
	s_add_u32 s16, s56, s16
	s_addc_u32 s17, s57, s17
	s_add_u32 s10, s10, 1
	s_addc_u32 s11, s11, 0
	;; [unrolled: 2-line block ×4, first 2 shown]
	s_cmp_lg_u32 s10, s48
	global_store_dwordx2 v4, v[0:1], s[18:19]
	global_store_dword v4, v5, s[16:17]
	s_cbranch_scc0 .LBB24_67
.LBB24_61:                              ; =>This Loop Header: Depth=1
                                        ;     Child Loop BB24_63 Depth 2
	s_mov_b32 s12, s10
	s_lshl_b64 s[16:17], s[12:13], 3
	s_add_u32 s16, s36, s16
	s_addc_u32 s17, s37, s17
	s_lshl_b64 s[18:19], s[12:13], 2
	s_add_u32 s18, s56, s18
	s_addc_u32 s19, s57, s19
	global_load_dwordx2 v[0:1], v4, s[16:17]
	global_load_dword v5, v4, s[18:19]
	s_mov_b64 s[18:19], s[14:15]
	s_mov_b64 s[20:21], s[8:9]
	;; [unrolled: 1-line block ×3, first 2 shown]
	s_branch .LBB24_63
.LBB24_62:                              ;   in Loop: Header=BB24_63 Depth=2
	global_load_dword v6, v4, s[20:21] offset:-228
	s_add_u32 s64, s20, 0xffffff1c
	s_addc_u32 s65, s21, -1
	s_add_u32 s24, s16, 0xffffffc7
	s_addc_u32 s25, s17, -1
	global_store_dwordx2 v4, v[2:3], s[18:19] offset:456
	s_add_u32 s18, s18, 0xfffffe38
	s_addc_u32 s19, s19, -1
	s_cmpk_lt_i32 s16, 0x72
	s_mov_b64 s[22:23], 0
	s_mov_b64 s[16:17], s[24:25]
	s_cselect_b64 s[30:31], -1, 0
	s_waitcnt vmcnt(1)
	global_store_dword v4, v6, s[20:21]
	s_mov_b64 s[20:21], s[64:65]
	s_andn2_b64 vcc, exec, s[30:31]
	s_cbranch_vccz .LBB24_65
.LBB24_63:                              ;   Parent Loop BB24_61 Depth=1
                                        ; =>  This Inner Loop Header: Depth=2
	global_load_dwordx2 v[2:3], v4, s[18:19]
	s_mov_b64 s[22:23], -1
	s_waitcnt vmcnt(0)
	v_cmp_nlt_f64_e32 vcc, v[2:3], v[0:1]
	s_cbranch_vccz .LBB24_62
; %bb.64:                               ;   in Loop: Header=BB24_61 Depth=1
                                        ; implicit-def: $sgpr20_sgpr21
                                        ; implicit-def: $sgpr18_sgpr19
                                        ; implicit-def: $sgpr24_sgpr25
.LBB24_65:                              ;   in Loop: Header=BB24_61 Depth=1
	s_andn2_b64 vcc, exec, s[22:23]
	s_cbranch_vccz .LBB24_60
; %bb.66:                               ;   in Loop: Header=BB24_61 Depth=1
	s_bfe_i64 s[16:17], s[24:25], 0x200000
	s_branch .LBB24_60
.LBB24_67:
	s_cmp_lt_i32 s48, 24
	s_cbranch_scc1 .LBB24_76
; %bb.68:
	s_add_u32 s8, s56, 0x5c
	s_addc_u32 s9, s57, 0
	s_mov_b64 s[10:11], 23
	s_mov_b32 s13, 0
	v_mov_b32_e32 v4, 0
	s_mov_b64 s[14:15], s[36:37]
	s_branch .LBB24_70
.LBB24_69:                              ;   in Loop: Header=BB24_70 Depth=1
	s_lshl_b64 s[18:19], s[16:17], 3
	s_add_u32 s18, s36, s18
	s_addc_u32 s19, s37, s19
	s_lshl_b64 s[16:17], s[16:17], 2
	s_add_u32 s16, s56, s16
	s_addc_u32 s17, s57, s17
	s_add_u32 s10, s10, 1
	s_addc_u32 s11, s11, 0
	;; [unrolled: 2-line block ×4, first 2 shown]
	s_cmp_lg_u32 s10, s48
	global_store_dwordx2 v4, v[0:1], s[18:19]
	global_store_dword v4, v5, s[16:17]
	s_cbranch_scc0 .LBB24_76
.LBB24_70:                              ; =>This Loop Header: Depth=1
                                        ;     Child Loop BB24_72 Depth 2
	s_mov_b32 s12, s10
	s_lshl_b64 s[16:17], s[12:13], 3
	s_add_u32 s16, s36, s16
	s_addc_u32 s17, s37, s17
	s_lshl_b64 s[18:19], s[12:13], 2
	s_add_u32 s18, s56, s18
	s_addc_u32 s19, s57, s19
	global_load_dwordx2 v[0:1], v4, s[16:17]
	global_load_dword v5, v4, s[18:19]
	s_mov_b64 s[18:19], s[14:15]
	s_mov_b64 s[20:21], s[8:9]
	;; [unrolled: 1-line block ×3, first 2 shown]
	s_branch .LBB24_72
.LBB24_71:                              ;   in Loop: Header=BB24_72 Depth=2
	global_load_dword v6, v4, s[20:21] offset:-92
	s_add_u32 s64, s20, 0xffffffa4
	s_addc_u32 s65, s21, -1
	s_add_u32 s24, s16, 0xffffffe9
	s_addc_u32 s25, s17, -1
	global_store_dwordx2 v4, v[2:3], s[18:19] offset:184
	s_add_u32 s18, s18, 0xffffff48
	s_addc_u32 s19, s19, -1
	s_cmp_lt_i32 s16, 46
	s_mov_b64 s[22:23], 0
	s_mov_b64 s[16:17], s[24:25]
	s_cselect_b64 s[30:31], -1, 0
	s_waitcnt vmcnt(1)
	global_store_dword v4, v6, s[20:21]
	s_mov_b64 s[20:21], s[64:65]
	s_andn2_b64 vcc, exec, s[30:31]
	s_cbranch_vccz .LBB24_74
.LBB24_72:                              ;   Parent Loop BB24_70 Depth=1
                                        ; =>  This Inner Loop Header: Depth=2
	global_load_dwordx2 v[2:3], v4, s[18:19]
	s_mov_b64 s[22:23], -1
	s_waitcnt vmcnt(0)
	v_cmp_nlt_f64_e32 vcc, v[2:3], v[0:1]
	s_cbranch_vccz .LBB24_71
; %bb.73:                               ;   in Loop: Header=BB24_70 Depth=1
                                        ; implicit-def: $sgpr20_sgpr21
                                        ; implicit-def: $sgpr18_sgpr19
                                        ; implicit-def: $sgpr24_sgpr25
.LBB24_74:                              ;   in Loop: Header=BB24_70 Depth=1
	s_andn2_b64 vcc, exec, s[22:23]
	s_cbranch_vccz .LBB24_69
; %bb.75:                               ;   in Loop: Header=BB24_70 Depth=1
	s_bfe_i64 s[16:17], s[24:25], 0x200000
	s_branch .LBB24_69
.LBB24_76:
	s_cmp_lt_i32 s48, 11
	s_cbranch_scc1 .LBB24_85
; %bb.77:
	s_add_u32 s8, s56, 40
	s_addc_u32 s9, s57, 0
	s_mov_b64 s[10:11], 10
	s_mov_b32 s13, 0
	v_mov_b32_e32 v4, 0
	s_mov_b64 s[14:15], s[36:37]
	s_branch .LBB24_79
.LBB24_78:                              ;   in Loop: Header=BB24_79 Depth=1
	s_lshl_b64 s[18:19], s[16:17], 3
	s_add_u32 s18, s36, s18
	s_addc_u32 s19, s37, s19
	s_lshl_b64 s[16:17], s[16:17], 2
	s_add_u32 s16, s56, s16
	s_addc_u32 s17, s57, s17
	s_add_u32 s10, s10, 1
	s_addc_u32 s11, s11, 0
	;; [unrolled: 2-line block ×4, first 2 shown]
	s_cmp_lg_u32 s10, s48
	global_store_dwordx2 v4, v[0:1], s[18:19]
	global_store_dword v4, v5, s[16:17]
	s_cbranch_scc0 .LBB24_85
.LBB24_79:                              ; =>This Loop Header: Depth=1
                                        ;     Child Loop BB24_81 Depth 2
	s_mov_b32 s12, s10
	s_lshl_b64 s[16:17], s[12:13], 3
	s_add_u32 s16, s36, s16
	s_addc_u32 s17, s37, s17
	s_lshl_b64 s[18:19], s[12:13], 2
	s_add_u32 s18, s56, s18
	s_addc_u32 s19, s57, s19
	global_load_dwordx2 v[0:1], v4, s[16:17]
	global_load_dword v5, v4, s[18:19]
	s_mov_b64 s[18:19], s[14:15]
	s_mov_b64 s[20:21], s[8:9]
	s_mov_b64 s[16:17], s[10:11]
	s_branch .LBB24_81
.LBB24_80:                              ;   in Loop: Header=BB24_81 Depth=2
	global_load_dword v6, v4, s[20:21] offset:-40
	s_add_u32 s64, s20, 0xffffffd8
	s_addc_u32 s65, s21, -1
	s_add_u32 s24, s16, -10
	s_addc_u32 s25, s17, -1
	global_store_dwordx2 v4, v[2:3], s[18:19] offset:80
	s_add_u32 s18, s18, 0xffffffb0
	s_addc_u32 s19, s19, -1
	s_cmp_lt_i32 s16, 20
	s_mov_b64 s[22:23], 0
	s_mov_b64 s[16:17], s[24:25]
	s_cselect_b64 s[30:31], -1, 0
	s_waitcnt vmcnt(1)
	global_store_dword v4, v6, s[20:21]
	s_mov_b64 s[20:21], s[64:65]
	s_andn2_b64 vcc, exec, s[30:31]
	s_cbranch_vccz .LBB24_83
.LBB24_81:                              ;   Parent Loop BB24_79 Depth=1
                                        ; =>  This Inner Loop Header: Depth=2
	global_load_dwordx2 v[2:3], v4, s[18:19]
	s_mov_b64 s[22:23], -1
	s_waitcnt vmcnt(0)
	v_cmp_nlt_f64_e32 vcc, v[2:3], v[0:1]
	s_cbranch_vccz .LBB24_80
; %bb.82:                               ;   in Loop: Header=BB24_79 Depth=1
                                        ; implicit-def: $sgpr20_sgpr21
                                        ; implicit-def: $sgpr18_sgpr19
                                        ; implicit-def: $sgpr24_sgpr25
.LBB24_83:                              ;   in Loop: Header=BB24_79 Depth=1
	s_andn2_b64 vcc, exec, s[22:23]
	s_cbranch_vccz .LBB24_78
; %bb.84:                               ;   in Loop: Header=BB24_79 Depth=1
	s_bfe_i64 s[16:17], s[24:25], 0x200000
	s_branch .LBB24_78
.LBB24_85:
	s_cmp_lt_i32 s48, 5
	s_cbranch_scc1 .LBB24_94
; %bb.86:
	s_add_u32 s8, s56, 16
	s_addc_u32 s9, s57, 0
	s_add_u32 s10, s54, s52
	s_addc_u32 s11, s55, s53
	;; [unrolled: 2-line block ×3, first 2 shown]
	s_mov_b64 s[12:13], 4
	s_mov_b32 s15, 0
	v_mov_b32_e32 v4, 0
	s_branch .LBB24_88
.LBB24_87:                              ;   in Loop: Header=BB24_88 Depth=1
	s_lshl_b64 s[18:19], s[16:17], 3
	s_add_u32 s18, s36, s18
	s_addc_u32 s19, s37, s19
	s_lshl_b64 s[16:17], s[16:17], 2
	s_add_u32 s16, s56, s16
	s_addc_u32 s17, s57, s17
	s_add_u32 s12, s12, 1
	s_addc_u32 s13, s13, 0
	;; [unrolled: 2-line block ×4, first 2 shown]
	s_cmp_lg_u32 s12, s48
	global_store_dwordx2 v4, v[0:1], s[18:19]
	global_store_dword v4, v5, s[16:17]
	s_cbranch_scc0 .LBB24_94
.LBB24_88:                              ; =>This Loop Header: Depth=1
                                        ;     Child Loop BB24_90 Depth 2
	s_mov_b32 s14, s12
	s_lshl_b64 s[16:17], s[14:15], 3
	s_add_u32 s16, s36, s16
	s_addc_u32 s17, s37, s17
	s_lshl_b64 s[18:19], s[14:15], 2
	s_add_u32 s18, s56, s18
	s_addc_u32 s19, s57, s19
	global_load_dwordx2 v[0:1], v4, s[16:17]
	global_load_dword v5, v4, s[18:19]
	s_mov_b64 s[20:21], s[10:11]
	s_mov_b64 s[18:19], s[8:9]
	;; [unrolled: 1-line block ×3, first 2 shown]
	s_branch .LBB24_90
.LBB24_89:                              ;   in Loop: Header=BB24_90 Depth=2
	global_load_dword v6, v4, s[18:19] offset:-16
	s_mov_b64 s[22:23], 0
	global_store_dwordx2 v4, v[2:3], s[20:21]
	s_add_u32 s20, s18, -16
	s_addc_u32 s21, s19, -1
	s_add_u32 s24, s16, -4
	s_addc_u32 s25, s17, -1
	s_cmp_lt_i32 s16, 8
	s_mov_b64 s[16:17], s[24:25]
	s_cselect_b64 s[64:65], -1, 0
	s_waitcnt vmcnt(1)
	global_store_dword v4, v6, s[18:19]
	s_mov_b64 s[18:19], s[20:21]
	s_mov_b64 s[20:21], s[30:31]
	s_andn2_b64 vcc, exec, s[64:65]
	s_cbranch_vccz .LBB24_92
.LBB24_90:                              ;   Parent Loop BB24_88 Depth=1
                                        ; =>  This Inner Loop Header: Depth=2
	global_load_dwordx2 v[2:3], v4, s[20:21] offset:-32
	s_add_u32 s30, s20, 0xffffffe0
	s_addc_u32 s31, s21, -1
	s_mov_b64 s[22:23], -1
	s_waitcnt vmcnt(0)
	v_cmp_nlt_f64_e32 vcc, v[2:3], v[0:1]
	s_cbranch_vccz .LBB24_89
; %bb.91:                               ;   in Loop: Header=BB24_88 Depth=1
                                        ; implicit-def: $sgpr18_sgpr19
                                        ; implicit-def: $sgpr20_sgpr21
                                        ; implicit-def: $sgpr24_sgpr25
.LBB24_92:                              ;   in Loop: Header=BB24_88 Depth=1
	s_andn2_b64 vcc, exec, s[22:23]
	s_cbranch_vccz .LBB24_87
; %bb.93:                               ;   in Loop: Header=BB24_88 Depth=1
	s_bfe_i64 s[16:17], s[24:25], 0x200000
	s_branch .LBB24_87
.LBB24_94:
	s_cmp_lt_i32 s48, 2
	s_cbranch_scc1 .LBB24_101
; %bb.95:
	s_add_u32 s8, s56, 4
	s_addc_u32 s9, s57, 0
	s_add_u32 s10, s54, s52
	s_addc_u32 s11, s55, s53
	;; [unrolled: 2-line block ×3, first 2 shown]
	s_mov_b64 s[12:13], 1
	s_mov_b32 s15, 0
	v_mov_b32_e32 v4, 0
	s_branch .LBB24_97
.LBB24_96:                              ;   in Loop: Header=BB24_97 Depth=1
	s_lshl_b64 s[16:17], s[22:23], 3
	s_add_u32 s16, s36, s16
	s_addc_u32 s17, s37, s17
	global_store_dwordx2 v4, v[0:1], s[16:17]
	s_lshl_b64 s[16:17], s[22:23], 2
	s_add_u32 s16, s56, s16
	s_addc_u32 s17, s57, s17
	s_add_u32 s12, s12, 1
	s_addc_u32 s13, s13, 0
	;; [unrolled: 2-line block ×4, first 2 shown]
	s_cmp_eq_u32 s12, s48
	global_store_dword v4, v5, s[16:17]
	s_cbranch_scc1 .LBB24_101
.LBB24_97:                              ; =>This Loop Header: Depth=1
                                        ;     Child Loop BB24_99 Depth 2
	s_mov_b32 s14, s12
	s_lshl_b64 s[16:17], s[14:15], 3
	s_add_u32 s16, s36, s16
	s_addc_u32 s17, s37, s17
	s_lshl_b64 s[18:19], s[14:15], 2
	s_add_u32 s18, s56, s18
	s_addc_u32 s19, s57, s19
	global_load_dwordx2 v[0:1], v4, s[16:17]
	global_load_dword v5, v4, s[18:19]
	s_mov_b64 s[20:21], s[10:11]
	s_mov_b64 s[16:17], s[8:9]
	;; [unrolled: 1-line block ×3, first 2 shown]
	s_branch .LBB24_99
.LBB24_98:                              ;   in Loop: Header=BB24_99 Depth=2
	global_load_dword v6, v4, s[16:17] offset:-4
	s_mov_b64 s[22:23], 0
	global_store_dwordx2 v4, v[2:3], s[20:21]
	s_add_u32 s20, s16, -4
	s_addc_u32 s21, s17, -1
	s_add_u32 s30, s18, -1
	s_addc_u32 s31, s19, -1
	s_cmp_lt_i32 s18, 2
	s_mov_b64 s[18:19], s[30:31]
	s_cselect_b64 s[30:31], -1, 0
	s_waitcnt vmcnt(1)
	global_store_dword v4, v6, s[16:17]
	s_mov_b64 s[16:17], s[20:21]
	s_mov_b64 s[20:21], s[24:25]
	s_andn2_b64 vcc, exec, s[30:31]
	s_cbranch_vccz .LBB24_96
.LBB24_99:                              ;   Parent Loop BB24_97 Depth=1
                                        ; =>  This Inner Loop Header: Depth=2
	global_load_dwordx2 v[2:3], v4, s[20:21] offset:-8
	s_add_u32 s24, s20, -8
	s_addc_u32 s25, s21, -1
	s_mov_b64 s[30:31], -1
	s_waitcnt vmcnt(0)
	v_cmp_nlt_f64_e32 vcc, v[2:3], v[0:1]
	s_cbranch_vccz .LBB24_98
; %bb.100:                              ;   in Loop: Header=BB24_99 Depth=2
                                        ; implicit-def: $sgpr16_sgpr17
                                        ; implicit-def: $sgpr20_sgpr21
	s_mov_b64 s[22:23], s[18:19]
	s_andn2_b64 vcc, exec, s[30:31]
	s_cbranch_vccnz .LBB24_99
	s_branch .LBB24_96
.LBB24_101:
	s_or_b64 exec, exec, s[6:7]
	s_cmp_lt_i32 s48, 2
	s_cselect_b64 s[10:11], -1, 0
	s_mov_b64 s[66:67], 0
	s_and_b64 vcc, exec, s[10:11]
	s_barrier
	s_cbranch_vccnz .LBB24_109
; %bb.102:
	s_add_i32 s20, s48, -1
	v_cmp_gt_u32_e32 vcc, s20, v41
	s_mov_b64 s[10:11], -1
	s_mov_b64 s[6:7], 0
	s_and_saveexec_b64 s[8:9], vcc
	s_cbranch_execz .LBB24_111
; %bb.103:
	s_add_u32 s21, s36, 8
	s_addc_u32 s22, s37, 0
	s_mov_b64 s[10:11], 0
	v_mov_b32_e32 v1, 0
	v_mov_b32_e32 v4, s37
	;; [unrolled: 1-line block ×3, first 2 shown]
                                        ; implicit-def: $sgpr12_sgpr13
	s_branch .LBB24_105
.LBB24_104:                             ;   in Loop: Header=BB24_105 Depth=1
	s_or_b64 exec, exec, s[18:19]
	s_xor_b64 s[14:15], s[14:15], -1
	s_and_b64 s[6:7], exec, s[6:7]
	s_or_b64 s[10:11], s[6:7], s[10:11]
	s_andn2_b64 s[6:7], s[12:13], exec
	s_and_b64 s[12:13], s[14:15], exec
	s_or_b64 s[12:13], s[6:7], s[12:13]
	s_andn2_b64 exec, exec, s[10:11]
	s_cbranch_execz .LBB24_110
.LBB24_105:                             ; =>This Inner Loop Header: Depth=1
	v_lshlrev_b64 v[2:3], 3, v[0:1]
	v_add_co_u32_e32 v2, vcc, s36, v2
	v_addc_co_u32_e32 v3, vcc, v4, v3, vcc
	global_load_dwordx2 v[2:3], v[2:3], off
                                        ; implicit-def: $sgpr14_sgpr15
	s_waitcnt vmcnt(0)
	v_cmp_u_f64_e64 s[16:17], v[2:3], v[2:3]
	v_cmp_o_f64_e32 vcc, v[2:3], v[2:3]
	s_and_saveexec_b64 s[18:19], vcc
	s_cbranch_execz .LBB24_107
; %bb.106:                              ;   in Loop: Header=BB24_105 Depth=1
	v_ashrrev_i32_e32 v7, 31, v0
	v_mov_b32_e32 v6, v0
	v_lshlrev_b64 v[6:7], 3, v[6:7]
	v_mov_b32_e32 v5, s22
	v_add_co_u32_e32 v6, vcc, s21, v6
	v_addc_co_u32_e32 v7, vcc, v5, v7, vcc
	global_load_dwordx2 v[6:7], v[6:7], off
	s_andn2_b64 s[16:17], s[16:17], exec
	s_mov_b64 s[14:15], -1
	s_waitcnt vmcnt(0)
	v_cmp_u_f64_e32 vcc, v[6:7], v[6:7]
	v_cmp_ge_f64_e64 s[6:7], v[2:3], v[6:7]
	s_or_b64 s[6:7], vcc, s[6:7]
	s_and_b64 s[6:7], s[6:7], exec
	s_or_b64 s[16:17], s[16:17], s[6:7]
.LBB24_107:                             ;   in Loop: Header=BB24_105 Depth=1
	s_or_b64 exec, exec, s[18:19]
	s_mov_b64 s[6:7], -1
	s_and_saveexec_b64 s[18:19], s[16:17]
	s_cbranch_execz .LBB24_104
; %bb.108:                              ;   in Loop: Header=BB24_105 Depth=1
	v_add_u32_e32 v0, s60, v0
	v_cmp_le_u32_e32 vcc, s20, v0
	s_andn2_b64 s[14:15], s[14:15], exec
	s_orn2_b64 s[6:7], vcc, exec
	s_branch .LBB24_104
.LBB24_109:
	s_mov_b64 s[6:7], 0
	s_branch .LBB24_112
.LBB24_110:
	s_or_b64 exec, exec, s[10:11]
	s_mov_b64 s[6:7], exec
	s_orn2_b64 s[10:11], s[12:13], exec
.LBB24_111:
	s_or_b64 exec, exec, s[8:9]
.LBB24_112:
	s_and_saveexec_b64 s[8:9], s[10:11]
	s_cbranch_execz .LBB24_114
; %bb.113:
	s_mov_b64 s[66:67], exec
	s_barrier
	s_andn2_b64 s[6:7], s[6:7], exec
.LBB24_114:
	s_or_b64 exec, exec, s[8:9]
	s_mov_b64 s[64:65], 0
	s_and_saveexec_b64 s[68:69], s[6:7]
	s_cbranch_execz .LBB24_116
; %bb.115:
	s_add_u32 s8, s4, 0x90
	s_addc_u32 s9, s5, 0
	s_getpc_b64 s[6:7]
	s_add_u32 s6, s6, __PRETTY_FUNCTION__._ZN9rocsolver6v33100L21shell_sort_descendingIdiEEvT0_PT_PS2_@rel32@lo+4
	s_addc_u32 s7, s7, __PRETTY_FUNCTION__._ZN9rocsolver6v33100L21shell_sort_descendingIdiEEvT0_PT_PS2_@rel32@hi+12
	v_mov_b32_e32 v0, s6
	v_mov_b32_e32 v1, s7
	s_getpc_b64 s[10:11]
	s_add_u32 s10, s10, __assert_fail@rel32@lo+4
	s_addc_u32 s11, s11, __assert_fail@rel32@hi+12
	s_mov_b64 s[64:65], s[4:5]
	s_swappc_b64 s[30:31], s[10:11]
	s_mov_b64 s[4:5], s[64:65]
	s_mov_b64 s[64:65], exec
.LBB24_116:
	s_or_b64 exec, exec, s[68:69]
.LBB24_117:
	s_and_saveexec_b64 s[20:21], s[66:67]
	s_cbranch_execz .LBB24_141
; %bb.118:
	s_andn2_b64 vcc, exec, s[62:63]
	s_barrier
	s_cbranch_vccnz .LBB24_140
; %bb.119:
	s_cmp_gt_i32 s49, 0
	s_cselect_b64 s[14:15], -1, 0
	s_ashr_i32 s33, s47, 31
	s_cmp_gt_i32 s50, 0
	s_cselect_b64 s[16:17], -1, 0
	s_cmp_gt_i32 s51, 0
	v_cndmask_b32_e64 v0, 0, 1, s[14:15]
	s_cselect_b64 s[18:19], -1, 0
	v_cmp_ne_u32_e64 s[14:15], 1, v0
	v_cndmask_b32_e64 v0, 0, 1, s[16:17]
	s_mov_b32 s23, 0
	v_cmp_ne_u32_e64 s[16:17], 1, v0
	v_cndmask_b32_e64 v0, 0, 1, s[18:19]
	v_cmp_eq_u32_e64 s[6:7], 0, v41
	v_cmp_gt_u32_e64 s[8:9], s49, v41
	s_mov_b32 s72, s47
	v_cmp_gt_u32_e64 s[10:11], s50, v41
	s_mov_b32 s73, s43
	v_cmp_gt_u32_e64 s[12:13], s51, v41
	s_ashr_i32 s74, s61, 31
	s_mov_b32 s75, s61
	v_mov_b32_e32 v1, 0
	v_cmp_ne_u32_e64 s[18:19], 1, v0
	s_mov_b32 s22, s23
	s_branch .LBB24_121
.LBB24_120:                             ;   in Loop: Header=BB24_121 Depth=1
	s_add_i32 s22, s22, 1
	s_cmp_eq_u32 s22, s48
	s_cbranch_scc1 .LBB24_140
.LBB24_121:                             ; =>This Loop Header: Depth=1
                                        ;     Child Loop BB24_124 Depth 2
                                        ;       Child Loop BB24_129 Depth 3
                                        ;       Child Loop BB24_134 Depth 3
	;; [unrolled: 1-line block ×3, first 2 shown]
	s_lshl_b64 s[24:25], s[22:23], 2
	s_add_u32 s24, s56, s24
	s_addc_u32 s25, s57, s25
	global_load_dword v0, v1, s[24:25]
	s_waitcnt vmcnt(0)
	v_cmp_eq_u32_e32 vcc, s22, v0
	v_readfirstlane_b32 s30, v0
	s_cbranch_vccz .LBB24_124
	s_branch .LBB24_120
.LBB24_122:                             ;   in Loop: Header=BB24_124 Depth=2
	s_or_b64 exec, exec, s[62:63]
	s_waitcnt lgkmcnt(0)
	s_barrier
.LBB24_123:                             ;   in Loop: Header=BB24_124 Depth=2
	global_load_dword v0, v1, s[24:25]
	s_waitcnt vmcnt(0)
	v_cmp_ne_u32_e32 vcc, s22, v0
	v_readfirstlane_b32 s30, v0
	s_cbranch_vccz .LBB24_120
.LBB24_124:                             ;   Parent Loop BB24_121 Depth=1
                                        ; =>  This Loop Header: Depth=2
                                        ;       Child Loop BB24_129 Depth 3
                                        ;       Child Loop BB24_134 Depth 3
	;; [unrolled: 1-line block ×3, first 2 shown]
	s_ashr_i32 s31, s30, 31
	s_lshl_b64 s[58:59], s[30:31], 2
	s_add_u32 s62, s56, s58
	s_addc_u32 s63, s57, s59
	global_load_dword v0, v1, s[62:63]
	s_barrier
	s_waitcnt vmcnt(0)
	v_readfirstlane_b32 s58, v0
	s_and_saveexec_b64 s[66:67], s[6:7]
	s_cbranch_execz .LBB24_126
; %bb.125:                              ;   in Loop: Header=BB24_124 Depth=2
	v_mov_b32_e32 v0, s30
	global_store_dword v1, v0, s[62:63]
	v_mov_b32_e32 v0, s58
	global_store_dword v1, v0, s[24:25]
.LBB24_126:                             ;   in Loop: Header=BB24_124 Depth=2
	s_or_b64 exec, exec, s[66:67]
	s_and_b64 vcc, exec, s[14:15]
	s_barrier
	s_cbranch_vccnz .LBB24_131
; %bb.127:                              ;   in Loop: Header=BB24_124 Depth=2
	s_and_saveexec_b64 s[62:63], s[8:9]
	s_cbranch_execz .LBB24_130
; %bb.128:                              ;   in Loop: Header=BB24_124 Depth=2
	s_ashr_i32 s59, s58, 31
	s_mov_b64 s[66:67], 0
	s_lshl_b64 s[68:69], s[30:31], 3
	s_lshl_b64 s[70:71], s[58:59], 3
	v_mov_b32_e32 v0, v41
.LBB24_129:                             ;   Parent Loop BB24_121 Depth=1
                                        ;     Parent Loop BB24_124 Depth=2
                                        ; =>    This Inner Loop Header: Depth=3
	v_mad_u64_u32 v[2:3], s[76:77], v0, s72, 0
	v_mov_b32_e32 v4, v3
	v_mad_u64_u32 v[4:5], s[76:77], v0, s33, v[4:5]
	v_mov_b32_e32 v3, v4
	v_lshlrev_b64 v[2:3], 3, v[2:3]
	v_mov_b32_e32 v6, s35
	v_add_co_u32_e32 v4, vcc, s34, v2
	v_addc_co_u32_e32 v5, vcc, v6, v3, vcc
	v_mov_b32_e32 v7, s69
	v_add_co_u32_e32 v2, vcc, s68, v4
	v_addc_co_u32_e32 v3, vcc, v5, v7, vcc
	v_mov_b32_e32 v8, s71
	v_add_co_u32_e32 v4, vcc, s70, v4
	v_addc_co_u32_e32 v5, vcc, v5, v8, vcc
	flat_load_dwordx2 v[6:7], v[4:5]
	flat_load_dwordx2 v[8:9], v[2:3]
	v_add_u32_e32 v0, s60, v0
	v_cmp_le_u32_e32 vcc, s49, v0
	s_or_b64 s[66:67], vcc, s[66:67]
	s_waitcnt vmcnt(0) lgkmcnt(0)
	flat_store_dwordx2 v[2:3], v[6:7]
	flat_store_dwordx2 v[4:5], v[8:9]
	s_andn2_b64 exec, exec, s[66:67]
	s_cbranch_execnz .LBB24_129
.LBB24_130:                             ;   in Loop: Header=BB24_124 Depth=2
	s_or_b64 exec, exec, s[62:63]
	s_waitcnt lgkmcnt(0)
	s_barrier
.LBB24_131:                             ;   in Loop: Header=BB24_124 Depth=2
	s_and_b64 vcc, exec, s[16:17]
	s_cbranch_vccnz .LBB24_136
; %bb.132:                              ;   in Loop: Header=BB24_124 Depth=2
	s_and_saveexec_b64 s[62:63], s[10:11]
	s_cbranch_execz .LBB24_135
; %bb.133:                              ;   in Loop: Header=BB24_124 Depth=2
	s_mul_hi_i32 s67, s30, s73
	s_mul_i32 s66, s30, s73
	s_lshl_b64 s[66:67], s[66:67], 3
	s_add_u32 s59, s28, s66
	s_addc_u32 s69, s29, s67
	s_mul_hi_i32 s67, s58, s73
	s_mul_i32 s66, s58, s73
	s_lshl_b64 s[66:67], s[66:67], 3
	s_add_u32 s68, s28, s66
	s_addc_u32 s70, s29, s67
	s_mov_b64 s[66:67], 0
	v_mov_b32_e32 v2, s69
	v_mov_b32_e32 v3, s70
	;; [unrolled: 1-line block ×3, first 2 shown]
.LBB24_134:                             ;   Parent Loop BB24_121 Depth=1
                                        ;     Parent Loop BB24_124 Depth=2
                                        ; =>    This Inner Loop Header: Depth=3
	v_lshlrev_b64 v[4:5], 3, v[0:1]
	v_add_co_u32_e32 v6, vcc, s59, v4
	v_addc_co_u32_e32 v7, vcc, v2, v5, vcc
	v_add_co_u32_e32 v4, vcc, s68, v4
	v_addc_co_u32_e32 v5, vcc, v3, v5, vcc
	flat_load_dwordx2 v[8:9], v[4:5]
	flat_load_dwordx2 v[10:11], v[6:7]
	v_add_u32_e32 v0, s60, v0
	v_cmp_le_u32_e32 vcc, s50, v0
	s_or_b64 s[66:67], vcc, s[66:67]
	s_waitcnt vmcnt(0) lgkmcnt(0)
	flat_store_dwordx2 v[6:7], v[8:9]
	flat_store_dwordx2 v[4:5], v[10:11]
	s_andn2_b64 exec, exec, s[66:67]
	s_cbranch_execnz .LBB24_134
.LBB24_135:                             ;   in Loop: Header=BB24_124 Depth=2
	s_or_b64 exec, exec, s[62:63]
	s_waitcnt lgkmcnt(0)
	s_barrier
.LBB24_136:                             ;   in Loop: Header=BB24_124 Depth=2
	s_and_b64 vcc, exec, s[18:19]
	s_cbranch_vccnz .LBB24_123
; %bb.137:                              ;   in Loop: Header=BB24_124 Depth=2
	s_and_saveexec_b64 s[62:63], s[12:13]
	s_cbranch_execz .LBB24_122
; %bb.138:                              ;   in Loop: Header=BB24_124 Depth=2
	s_ashr_i32 s59, s58, 31
	s_mov_b64 s[66:67], 0
	s_lshl_b64 s[58:59], s[58:59], 3
	v_mov_b32_e32 v0, v41
.LBB24_139:                             ;   Parent Loop BB24_121 Depth=1
                                        ;     Parent Loop BB24_124 Depth=2
                                        ; =>    This Inner Loop Header: Depth=3
	v_mad_u64_u32 v[2:3], s[68:69], v0, s75, 0
	v_mov_b32_e32 v4, v3
	v_mad_u64_u32 v[4:5], s[70:71], v0, s74, v[4:5]
	v_mov_b32_e32 v3, v4
	v_lshlrev_b64 v[2:3], 3, v[2:3]
	v_mov_b32_e32 v6, s45
	v_add_co_u32_e32 v4, vcc, s44, v2
	s_lshl_b64 s[68:69], s[30:31], 3
	v_addc_co_u32_e32 v5, vcc, v6, v3, vcc
	v_mov_b32_e32 v8, s69
	v_add_co_u32_e32 v2, vcc, s68, v4
	v_addc_co_u32_e32 v3, vcc, v5, v8, vcc
	v_mov_b32_e32 v7, s59
	v_add_co_u32_e32 v4, vcc, s58, v4
	v_addc_co_u32_e32 v5, vcc, v5, v7, vcc
	flat_load_dwordx2 v[6:7], v[4:5]
	flat_load_dwordx2 v[8:9], v[2:3]
	v_add_u32_e32 v0, s60, v0
	v_cmp_le_u32_e32 vcc, s51, v0
	s_or_b64 s[66:67], vcc, s[66:67]
	s_waitcnt vmcnt(0) lgkmcnt(0)
	flat_store_dwordx2 v[2:3], v[6:7]
	flat_store_dwordx2 v[4:5], v[8:9]
	s_andn2_b64 exec, exec, s[66:67]
	s_cbranch_execnz .LBB24_139
	s_branch .LBB24_122
.LBB24_140:
	s_mov_b64 s[58:59], exec
.LBB24_141:
	s_or_b64 exec, exec, s[20:21]
	s_branch .LBB24_228
.LBB24_142:
	s_mov_b64 s[58:59], -1
	s_and_b64 vcc, exec, s[40:41]
	s_cbranch_vccz .LBB24_228
; %bb.143:
	v_or3_b32 v0, v43, v44, v42
	v_cmp_eq_u32_e32 vcc, 0, v0
	s_barrier
	s_barrier
	s_and_saveexec_b64 s[6:7], vcc
	s_cbranch_execz .LBB24_212
; %bb.144:
	s_cmpk_lt_u32 s48, 0x2be
	s_cbranch_scc1 .LBB24_151
; %bb.145:
	s_mov_b64 s[8:9], 0x2bd
	s_mov_b32 s11, 0
	v_mov_b32_e32 v4, 0
	v_mov_b32_e32 v5, 0x1000
	s_mov_b64 s[12:13], s[36:37]
	s_branch .LBB24_147
.LBB24_146:                             ;   in Loop: Header=BB24_147 Depth=1
	s_lshl_b64 s[14:15], s[18:19], 3
	s_add_u32 s14, s36, s14
	s_addc_u32 s15, s37, s15
	s_add_u32 s8, s8, 1
	s_addc_u32 s9, s9, 0
	s_add_u32 s12, s12, 8
	s_addc_u32 s13, s13, 0
	s_cmp_eq_u32 s8, s48
	global_store_dwordx2 v4, v[0:1], s[14:15]
	s_cbranch_scc1 .LBB24_151
.LBB24_147:                             ; =>This Loop Header: Depth=1
                                        ;     Child Loop BB24_149 Depth 2
	s_mov_b32 s10, s8
	s_lshl_b64 s[14:15], s[10:11], 3
	s_add_u32 s14, s36, s14
	s_addc_u32 s15, s37, s15
	global_load_dwordx2 v[0:1], v4, s[14:15]
	s_mov_b64 s[14:15], s[12:13]
	s_mov_b64 s[16:17], s[8:9]
	s_branch .LBB24_149
.LBB24_148:                             ;   in Loop: Header=BB24_149 Depth=2
	s_add_u32 s18, s16, 0xfffffd43
	s_addc_u32 s19, s17, -1
	global_store_dwordx2 v5, v[2:3], s[14:15] offset:1512
	s_add_u32 s14, s14, 0xffffea18
	s_addc_u32 s15, s15, -1
	s_cmpk_lt_i32 s16, 0x57a
	s_cselect_b64 s[20:21], -1, 0
	s_mov_b64 s[16:17], s[18:19]
	s_andn2_b64 vcc, exec, s[20:21]
	s_cbranch_vccz .LBB24_146
.LBB24_149:                             ;   Parent Loop BB24_147 Depth=1
                                        ; =>  This Inner Loop Header: Depth=2
	global_load_dwordx2 v[2:3], v4, s[14:15]
	s_mov_b64 s[20:21], -1
	s_waitcnt vmcnt(0)
	v_cmp_nlt_f64_e32 vcc, v[2:3], v[0:1]
	s_cbranch_vccz .LBB24_148
; %bb.150:                              ;   in Loop: Header=BB24_149 Depth=2
                                        ; implicit-def: $sgpr14_sgpr15
	s_mov_b64 s[18:19], s[16:17]
	s_andn2_b64 vcc, exec, s[20:21]
	s_cbranch_vccnz .LBB24_149
	s_branch .LBB24_146
.LBB24_151:
	s_cmpk_lt_i32 s48, 0x12e
	s_cbranch_scc1 .LBB24_160
; %bb.152:
	s_mov_b64 s[8:9], 0x12d
	s_mov_b32 s11, 0
	v_mov_b32_e32 v4, 0
	s_mov_b64 s[12:13], s[36:37]
	s_branch .LBB24_154
.LBB24_153:                             ;   in Loop: Header=BB24_154 Depth=1
	s_lshl_b64 s[14:15], s[14:15], 3
	s_add_u32 s14, s36, s14
	s_addc_u32 s15, s37, s15
	s_add_u32 s8, s8, 1
	s_addc_u32 s9, s9, 0
	;; [unrolled: 2-line block ×3, first 2 shown]
	s_cmp_lg_u32 s8, s48
	global_store_dwordx2 v4, v[0:1], s[14:15]
	s_cbranch_scc0 .LBB24_160
.LBB24_154:                             ; =>This Loop Header: Depth=1
                                        ;     Child Loop BB24_156 Depth 2
	s_mov_b32 s10, s8
	s_lshl_b64 s[14:15], s[10:11], 3
	s_add_u32 s14, s36, s14
	s_addc_u32 s15, s37, s15
	global_load_dwordx2 v[0:1], v4, s[14:15]
	s_mov_b64 s[16:17], s[12:13]
	s_mov_b64 s[14:15], s[8:9]
	s_branch .LBB24_156
.LBB24_155:                             ;   in Loop: Header=BB24_156 Depth=2
	s_add_u32 s18, s14, 0xfffffed3
	s_addc_u32 s19, s15, -1
	global_store_dwordx2 v4, v[2:3], s[16:17] offset:2408
	s_add_u32 s16, s16, 0xfffff698
	s_addc_u32 s17, s17, -1
	s_cmpk_lt_i32 s14, 0x25a
	s_mov_b64 s[20:21], 0
	s_cselect_b64 s[22:23], -1, 0
	s_mov_b64 s[14:15], s[18:19]
	s_andn2_b64 vcc, exec, s[22:23]
	s_cbranch_vccz .LBB24_158
.LBB24_156:                             ;   Parent Loop BB24_154 Depth=1
                                        ; =>  This Inner Loop Header: Depth=2
	global_load_dwordx2 v[2:3], v4, s[16:17]
	s_mov_b64 s[20:21], -1
	s_waitcnt vmcnt(0)
	v_cmp_nlt_f64_e32 vcc, v[2:3], v[0:1]
	s_cbranch_vccz .LBB24_155
; %bb.157:                              ;   in Loop: Header=BB24_154 Depth=1
                                        ; implicit-def: $sgpr16_sgpr17
                                        ; implicit-def: $sgpr18_sgpr19
.LBB24_158:                             ;   in Loop: Header=BB24_154 Depth=1
	s_andn2_b64 vcc, exec, s[20:21]
	s_cbranch_vccz .LBB24_153
; %bb.159:                              ;   in Loop: Header=BB24_154 Depth=1
	s_bfe_i64 s[14:15], s[18:19], 0x200000
	s_branch .LBB24_153
.LBB24_160:
	s_cmpk_lt_i32 s48, 0x85
	s_cbranch_scc1 .LBB24_169
; %bb.161:
	s_mov_b64 s[8:9], 0x84
	s_mov_b32 s11, 0
	v_mov_b32_e32 v4, 0
	s_mov_b64 s[12:13], s[36:37]
	s_branch .LBB24_163
.LBB24_162:                             ;   in Loop: Header=BB24_163 Depth=1
	s_lshl_b64 s[14:15], s[14:15], 3
	s_add_u32 s14, s36, s14
	s_addc_u32 s15, s37, s15
	s_add_u32 s8, s8, 1
	s_addc_u32 s9, s9, 0
	;; [unrolled: 2-line block ×3, first 2 shown]
	s_cmp_lg_u32 s8, s48
	global_store_dwordx2 v4, v[0:1], s[14:15]
	s_cbranch_scc0 .LBB24_169
.LBB24_163:                             ; =>This Loop Header: Depth=1
                                        ;     Child Loop BB24_165 Depth 2
	s_mov_b32 s10, s8
	s_lshl_b64 s[14:15], s[10:11], 3
	s_add_u32 s14, s36, s14
	s_addc_u32 s15, s37, s15
	global_load_dwordx2 v[0:1], v4, s[14:15]
	s_mov_b64 s[16:17], s[12:13]
	s_mov_b64 s[14:15], s[8:9]
	s_branch .LBB24_165
.LBB24_164:                             ;   in Loop: Header=BB24_165 Depth=2
	s_add_u32 s18, s14, 0xffffff7c
	s_addc_u32 s19, s15, -1
	global_store_dwordx2 v4, v[2:3], s[16:17] offset:1056
	s_add_u32 s16, s16, 0xfffffbe0
	s_addc_u32 s17, s17, -1
	s_cmpk_lt_i32 s14, 0x108
	s_mov_b64 s[20:21], 0
	s_cselect_b64 s[22:23], -1, 0
	s_mov_b64 s[14:15], s[18:19]
	s_andn2_b64 vcc, exec, s[22:23]
	s_cbranch_vccz .LBB24_167
.LBB24_165:                             ;   Parent Loop BB24_163 Depth=1
                                        ; =>  This Inner Loop Header: Depth=2
	global_load_dwordx2 v[2:3], v4, s[16:17]
	s_mov_b64 s[20:21], -1
	s_waitcnt vmcnt(0)
	v_cmp_nlt_f64_e32 vcc, v[2:3], v[0:1]
	s_cbranch_vccz .LBB24_164
; %bb.166:                              ;   in Loop: Header=BB24_163 Depth=1
                                        ; implicit-def: $sgpr16_sgpr17
                                        ; implicit-def: $sgpr18_sgpr19
.LBB24_167:                             ;   in Loop: Header=BB24_163 Depth=1
	s_andn2_b64 vcc, exec, s[20:21]
	s_cbranch_vccz .LBB24_162
; %bb.168:                              ;   in Loop: Header=BB24_163 Depth=1
	s_bfe_i64 s[14:15], s[18:19], 0x200000
	s_branch .LBB24_162
.LBB24_169:
	s_cmp_lt_i32 s48, 58
	s_cbranch_scc1 .LBB24_178
; %bb.170:
	s_mov_b64 s[8:9], 57
	s_mov_b32 s11, 0
	v_mov_b32_e32 v4, 0
	s_mov_b64 s[12:13], s[36:37]
	s_branch .LBB24_172
.LBB24_171:                             ;   in Loop: Header=BB24_172 Depth=1
	s_lshl_b64 s[14:15], s[14:15], 3
	s_add_u32 s14, s36, s14
	s_addc_u32 s15, s37, s15
	s_add_u32 s8, s8, 1
	s_addc_u32 s9, s9, 0
	;; [unrolled: 2-line block ×3, first 2 shown]
	s_cmp_lg_u32 s8, s48
	global_store_dwordx2 v4, v[0:1], s[14:15]
	s_cbranch_scc0 .LBB24_178
.LBB24_172:                             ; =>This Loop Header: Depth=1
                                        ;     Child Loop BB24_174 Depth 2
	s_mov_b32 s10, s8
	s_lshl_b64 s[14:15], s[10:11], 3
	s_add_u32 s14, s36, s14
	s_addc_u32 s15, s37, s15
	global_load_dwordx2 v[0:1], v4, s[14:15]
	s_mov_b64 s[16:17], s[12:13]
	s_mov_b64 s[14:15], s[8:9]
	s_branch .LBB24_174
.LBB24_173:                             ;   in Loop: Header=BB24_174 Depth=2
	s_add_u32 s18, s14, 0xffffffc7
	s_addc_u32 s19, s15, -1
	global_store_dwordx2 v4, v[2:3], s[16:17] offset:456
	s_add_u32 s16, s16, 0xfffffe38
	s_addc_u32 s17, s17, -1
	s_cmpk_lt_i32 s14, 0x72
	s_mov_b64 s[20:21], 0
	s_cselect_b64 s[22:23], -1, 0
	s_mov_b64 s[14:15], s[18:19]
	s_andn2_b64 vcc, exec, s[22:23]
	s_cbranch_vccz .LBB24_176
.LBB24_174:                             ;   Parent Loop BB24_172 Depth=1
                                        ; =>  This Inner Loop Header: Depth=2
	global_load_dwordx2 v[2:3], v4, s[16:17]
	s_mov_b64 s[20:21], -1
	s_waitcnt vmcnt(0)
	v_cmp_nlt_f64_e32 vcc, v[2:3], v[0:1]
	s_cbranch_vccz .LBB24_173
; %bb.175:                              ;   in Loop: Header=BB24_172 Depth=1
                                        ; implicit-def: $sgpr16_sgpr17
                                        ; implicit-def: $sgpr18_sgpr19
.LBB24_176:                             ;   in Loop: Header=BB24_172 Depth=1
	s_andn2_b64 vcc, exec, s[20:21]
	s_cbranch_vccz .LBB24_171
; %bb.177:                              ;   in Loop: Header=BB24_172 Depth=1
	s_bfe_i64 s[14:15], s[18:19], 0x200000
	s_branch .LBB24_171
.LBB24_178:
	s_cmp_lt_i32 s48, 24
	s_cbranch_scc1 .LBB24_187
; %bb.179:
	s_mov_b64 s[8:9], 23
	s_mov_b32 s11, 0
	v_mov_b32_e32 v4, 0
	s_mov_b64 s[12:13], s[36:37]
	s_branch .LBB24_181
.LBB24_180:                             ;   in Loop: Header=BB24_181 Depth=1
	s_lshl_b64 s[14:15], s[14:15], 3
	s_add_u32 s14, s36, s14
	s_addc_u32 s15, s37, s15
	s_add_u32 s8, s8, 1
	s_addc_u32 s9, s9, 0
	;; [unrolled: 2-line block ×3, first 2 shown]
	s_cmp_lg_u32 s8, s48
	global_store_dwordx2 v4, v[0:1], s[14:15]
	s_cbranch_scc0 .LBB24_187
.LBB24_181:                             ; =>This Loop Header: Depth=1
                                        ;     Child Loop BB24_183 Depth 2
	s_mov_b32 s10, s8
	s_lshl_b64 s[14:15], s[10:11], 3
	s_add_u32 s14, s36, s14
	s_addc_u32 s15, s37, s15
	global_load_dwordx2 v[0:1], v4, s[14:15]
	s_mov_b64 s[16:17], s[12:13]
	s_mov_b64 s[14:15], s[8:9]
	s_branch .LBB24_183
.LBB24_182:                             ;   in Loop: Header=BB24_183 Depth=2
	s_add_u32 s18, s14, 0xffffffe9
	s_addc_u32 s19, s15, -1
	global_store_dwordx2 v4, v[2:3], s[16:17] offset:184
	s_add_u32 s16, s16, 0xffffff48
	s_addc_u32 s17, s17, -1
	s_cmp_lt_i32 s14, 46
	s_mov_b64 s[20:21], 0
	s_cselect_b64 s[22:23], -1, 0
	s_mov_b64 s[14:15], s[18:19]
	s_andn2_b64 vcc, exec, s[22:23]
	s_cbranch_vccz .LBB24_185
.LBB24_183:                             ;   Parent Loop BB24_181 Depth=1
                                        ; =>  This Inner Loop Header: Depth=2
	global_load_dwordx2 v[2:3], v4, s[16:17]
	s_mov_b64 s[20:21], -1
	s_waitcnt vmcnt(0)
	v_cmp_nlt_f64_e32 vcc, v[2:3], v[0:1]
	s_cbranch_vccz .LBB24_182
; %bb.184:                              ;   in Loop: Header=BB24_181 Depth=1
                                        ; implicit-def: $sgpr16_sgpr17
                                        ; implicit-def: $sgpr18_sgpr19
.LBB24_185:                             ;   in Loop: Header=BB24_181 Depth=1
	s_andn2_b64 vcc, exec, s[20:21]
	s_cbranch_vccz .LBB24_180
; %bb.186:                              ;   in Loop: Header=BB24_181 Depth=1
	s_bfe_i64 s[14:15], s[18:19], 0x200000
	s_branch .LBB24_180
.LBB24_187:
	s_cmp_lt_i32 s48, 11
	s_cbranch_scc1 .LBB24_196
; %bb.188:
	s_mov_b64 s[8:9], 10
	s_mov_b32 s11, 0
	v_mov_b32_e32 v4, 0
	s_mov_b64 s[12:13], s[36:37]
	s_branch .LBB24_190
.LBB24_189:                             ;   in Loop: Header=BB24_190 Depth=1
	s_lshl_b64 s[14:15], s[14:15], 3
	s_add_u32 s14, s36, s14
	s_addc_u32 s15, s37, s15
	s_add_u32 s8, s8, 1
	s_addc_u32 s9, s9, 0
	;; [unrolled: 2-line block ×3, first 2 shown]
	s_cmp_lg_u32 s8, s48
	global_store_dwordx2 v4, v[0:1], s[14:15]
	s_cbranch_scc0 .LBB24_196
.LBB24_190:                             ; =>This Loop Header: Depth=1
                                        ;     Child Loop BB24_192 Depth 2
	s_mov_b32 s10, s8
	s_lshl_b64 s[14:15], s[10:11], 3
	s_add_u32 s14, s36, s14
	s_addc_u32 s15, s37, s15
	global_load_dwordx2 v[0:1], v4, s[14:15]
	s_mov_b64 s[16:17], s[12:13]
	s_mov_b64 s[14:15], s[8:9]
	s_branch .LBB24_192
.LBB24_191:                             ;   in Loop: Header=BB24_192 Depth=2
	s_add_u32 s18, s14, -10
	s_addc_u32 s19, s15, -1
	global_store_dwordx2 v4, v[2:3], s[16:17] offset:80
	s_add_u32 s16, s16, 0xffffffb0
	s_addc_u32 s17, s17, -1
	s_cmp_lt_i32 s14, 20
	s_mov_b64 s[20:21], 0
	s_cselect_b64 s[22:23], -1, 0
	s_mov_b64 s[14:15], s[18:19]
	s_andn2_b64 vcc, exec, s[22:23]
	s_cbranch_vccz .LBB24_194
.LBB24_192:                             ;   Parent Loop BB24_190 Depth=1
                                        ; =>  This Inner Loop Header: Depth=2
	global_load_dwordx2 v[2:3], v4, s[16:17]
	s_mov_b64 s[20:21], -1
	s_waitcnt vmcnt(0)
	v_cmp_nlt_f64_e32 vcc, v[2:3], v[0:1]
	s_cbranch_vccz .LBB24_191
; %bb.193:                              ;   in Loop: Header=BB24_190 Depth=1
                                        ; implicit-def: $sgpr16_sgpr17
                                        ; implicit-def: $sgpr18_sgpr19
.LBB24_194:                             ;   in Loop: Header=BB24_190 Depth=1
	s_andn2_b64 vcc, exec, s[20:21]
	s_cbranch_vccz .LBB24_189
; %bb.195:                              ;   in Loop: Header=BB24_190 Depth=1
	s_bfe_i64 s[14:15], s[18:19], 0x200000
	s_branch .LBB24_189
.LBB24_196:
	s_cmp_lt_i32 s48, 5
	s_cbranch_scc1 .LBB24_205
; %bb.197:
	s_add_u32 s8, s54, s52
	s_addc_u32 s9, s55, s53
	s_add_u32 s8, s8, 32
	s_addc_u32 s9, s9, 0
	s_mov_b64 s[10:11], 4
	s_mov_b32 s13, 0
	v_mov_b32_e32 v4, 0
	s_branch .LBB24_199
.LBB24_198:                             ;   in Loop: Header=BB24_199 Depth=1
	s_lshl_b64 s[14:15], s[14:15], 3
	s_add_u32 s14, s36, s14
	s_addc_u32 s15, s37, s15
	s_add_u32 s10, s10, 1
	s_addc_u32 s11, s11, 0
	;; [unrolled: 2-line block ×3, first 2 shown]
	s_cmp_lg_u32 s10, s48
	global_store_dwordx2 v4, v[0:1], s[14:15]
	s_cbranch_scc0 .LBB24_205
.LBB24_199:                             ; =>This Loop Header: Depth=1
                                        ;     Child Loop BB24_201 Depth 2
	s_mov_b32 s12, s10
	s_lshl_b64 s[14:15], s[12:13], 3
	s_add_u32 s14, s36, s14
	s_addc_u32 s15, s37, s15
	global_load_dwordx2 v[0:1], v4, s[14:15]
	s_mov_b64 s[16:17], s[8:9]
	s_mov_b64 s[14:15], s[10:11]
	s_branch .LBB24_201
.LBB24_200:                             ;   in Loop: Header=BB24_201 Depth=2
	s_add_u32 s20, s14, -4
	s_addc_u32 s21, s15, -1
	s_cmp_lt_i32 s14, 8
	global_store_dwordx2 v4, v[2:3], s[16:17]
	s_mov_b64 s[18:19], 0
	s_cselect_b64 s[24:25], -1, 0
	s_mov_b64 s[14:15], s[20:21]
	s_mov_b64 s[16:17], s[22:23]
	s_andn2_b64 vcc, exec, s[24:25]
	s_cbranch_vccz .LBB24_203
.LBB24_201:                             ;   Parent Loop BB24_199 Depth=1
                                        ; =>  This Inner Loop Header: Depth=2
	global_load_dwordx2 v[2:3], v4, s[16:17] offset:-32
	s_add_u32 s22, s16, 0xffffffe0
	s_addc_u32 s23, s17, -1
	s_mov_b64 s[18:19], -1
	s_waitcnt vmcnt(0)
	v_cmp_nlt_f64_e32 vcc, v[2:3], v[0:1]
	s_cbranch_vccz .LBB24_200
; %bb.202:                              ;   in Loop: Header=BB24_199 Depth=1
                                        ; implicit-def: $sgpr16_sgpr17
                                        ; implicit-def: $sgpr20_sgpr21
.LBB24_203:                             ;   in Loop: Header=BB24_199 Depth=1
	s_andn2_b64 vcc, exec, s[18:19]
	s_cbranch_vccz .LBB24_198
; %bb.204:                              ;   in Loop: Header=BB24_199 Depth=1
	s_bfe_i64 s[14:15], s[20:21], 0x200000
	s_branch .LBB24_198
.LBB24_205:
	s_cmp_lt_i32 s48, 2
	s_cbranch_scc1 .LBB24_212
; %bb.206:
	s_add_u32 s8, s54, s52
	s_addc_u32 s9, s55, s53
	s_add_u32 s8, s8, 8
	s_addc_u32 s9, s9, 0
	s_mov_b64 s[10:11], 1
	s_mov_b32 s13, 0
	v_mov_b32_e32 v4, 0
	s_branch .LBB24_208
.LBB24_207:                             ;   in Loop: Header=BB24_208 Depth=1
	s_lshl_b64 s[14:15], s[18:19], 3
	s_add_u32 s14, s36, s14
	s_addc_u32 s15, s37, s15
	s_add_u32 s10, s10, 1
	s_addc_u32 s11, s11, 0
	s_add_u32 s8, s8, 8
	s_addc_u32 s9, s9, 0
	s_cmp_eq_u32 s10, s48
	global_store_dwordx2 v4, v[0:1], s[14:15]
	s_cbranch_scc1 .LBB24_212
.LBB24_208:                             ; =>This Loop Header: Depth=1
                                        ;     Child Loop BB24_210 Depth 2
	s_mov_b32 s12, s10
	s_lshl_b64 s[14:15], s[12:13], 3
	s_add_u32 s14, s36, s14
	s_addc_u32 s15, s37, s15
	global_load_dwordx2 v[0:1], v4, s[14:15]
	s_mov_b64 s[16:17], s[8:9]
	s_mov_b64 s[14:15], s[10:11]
	s_branch .LBB24_210
.LBB24_209:                             ;   in Loop: Header=BB24_210 Depth=2
	global_store_dwordx2 v4, v[2:3], s[16:17]
	s_add_u32 s16, s14, -1
	s_addc_u32 s17, s15, -1
	s_cmp_lt_i32 s14, 2
	s_mov_b64 s[18:19], 0
	s_cselect_b64 s[20:21], -1, 0
	s_mov_b64 s[14:15], s[16:17]
	s_mov_b64 s[16:17], s[22:23]
	s_andn2_b64 vcc, exec, s[20:21]
	s_cbranch_vccz .LBB24_207
.LBB24_210:                             ;   Parent Loop BB24_208 Depth=1
                                        ; =>  This Inner Loop Header: Depth=2
	global_load_dwordx2 v[2:3], v4, s[16:17] offset:-8
	s_add_u32 s22, s16, -8
	s_addc_u32 s23, s17, -1
	s_mov_b64 s[20:21], -1
	s_waitcnt vmcnt(0)
	v_cmp_nlt_f64_e32 vcc, v[2:3], v[0:1]
	s_cbranch_vccz .LBB24_209
; %bb.211:                              ;   in Loop: Header=BB24_210 Depth=2
                                        ; implicit-def: $sgpr16_sgpr17
	s_mov_b64 s[18:19], s[14:15]
	s_andn2_b64 vcc, exec, s[20:21]
	s_cbranch_vccnz .LBB24_210
	s_branch .LBB24_207
.LBB24_212:
	s_or_b64 exec, exec, s[6:7]
	s_cmp_lt_i32 s48, 2
	s_cselect_b64 s[10:11], -1, 0
	s_mov_b64 s[58:59], 0
	s_and_b64 vcc, exec, s[10:11]
	s_barrier
	s_cbranch_vccnz .LBB24_220
; %bb.213:
	s_add_i32 s20, s48, -1
	v_cmp_gt_u32_e32 vcc, s20, v41
	s_mov_b64 s[10:11], -1
	s_mov_b64 s[6:7], 0
	s_and_saveexec_b64 s[8:9], vcc
	s_cbranch_execz .LBB24_222
; %bb.214:
	s_add_u32 s21, s36, 8
	s_addc_u32 s22, s37, 0
	s_mov_b64 s[10:11], 0
	v_mov_b32_e32 v1, 0
	v_mov_b32_e32 v4, s37
	;; [unrolled: 1-line block ×3, first 2 shown]
                                        ; implicit-def: $sgpr12_sgpr13
	s_branch .LBB24_216
.LBB24_215:                             ;   in Loop: Header=BB24_216 Depth=1
	s_or_b64 exec, exec, s[18:19]
	s_xor_b64 s[14:15], s[14:15], -1
	s_and_b64 s[6:7], exec, s[6:7]
	s_or_b64 s[10:11], s[6:7], s[10:11]
	s_andn2_b64 s[6:7], s[12:13], exec
	s_and_b64 s[12:13], s[14:15], exec
	s_or_b64 s[12:13], s[6:7], s[12:13]
	s_andn2_b64 exec, exec, s[10:11]
	s_cbranch_execz .LBB24_221
.LBB24_216:                             ; =>This Inner Loop Header: Depth=1
	v_lshlrev_b64 v[2:3], 3, v[0:1]
	v_add_co_u32_e32 v2, vcc, s36, v2
	v_addc_co_u32_e32 v3, vcc, v4, v3, vcc
	global_load_dwordx2 v[2:3], v[2:3], off
                                        ; implicit-def: $sgpr14_sgpr15
	s_waitcnt vmcnt(0)
	v_cmp_u_f64_e64 s[16:17], v[2:3], v[2:3]
	v_cmp_o_f64_e32 vcc, v[2:3], v[2:3]
	s_and_saveexec_b64 s[18:19], vcc
	s_cbranch_execz .LBB24_218
; %bb.217:                              ;   in Loop: Header=BB24_216 Depth=1
	v_ashrrev_i32_e32 v7, 31, v0
	v_mov_b32_e32 v6, v0
	v_lshlrev_b64 v[6:7], 3, v[6:7]
	v_mov_b32_e32 v5, s22
	v_add_co_u32_e32 v6, vcc, s21, v6
	v_addc_co_u32_e32 v7, vcc, v5, v7, vcc
	global_load_dwordx2 v[6:7], v[6:7], off
	s_andn2_b64 s[16:17], s[16:17], exec
	s_mov_b64 s[14:15], -1
	s_waitcnt vmcnt(0)
	v_cmp_u_f64_e32 vcc, v[6:7], v[6:7]
	v_cmp_ge_f64_e64 s[6:7], v[2:3], v[6:7]
	s_or_b64 s[6:7], vcc, s[6:7]
	s_and_b64 s[6:7], s[6:7], exec
	s_or_b64 s[16:17], s[16:17], s[6:7]
.LBB24_218:                             ;   in Loop: Header=BB24_216 Depth=1
	s_or_b64 exec, exec, s[18:19]
	s_mov_b64 s[6:7], -1
	s_and_saveexec_b64 s[18:19], s[16:17]
	s_cbranch_execz .LBB24_215
; %bb.219:                              ;   in Loop: Header=BB24_216 Depth=1
	v_add_u32_e32 v0, s60, v0
	v_cmp_le_u32_e32 vcc, s20, v0
	s_andn2_b64 s[14:15], s[14:15], exec
	s_orn2_b64 s[6:7], vcc, exec
	s_branch .LBB24_215
.LBB24_220:
	s_mov_b64 s[6:7], 0
	s_branch .LBB24_223
.LBB24_221:
	s_or_b64 exec, exec, s[10:11]
	s_mov_b64 s[6:7], exec
	s_orn2_b64 s[10:11], s[12:13], exec
.LBB24_222:
	s_or_b64 exec, exec, s[8:9]
.LBB24_223:
	s_and_saveexec_b64 s[8:9], s[10:11]
	s_cbranch_execz .LBB24_225
; %bb.224:
	s_mov_b64 s[58:59], exec
	s_barrier
	s_andn2_b64 s[6:7], s[6:7], exec
.LBB24_225:
	s_or_b64 exec, exec, s[8:9]
	s_and_saveexec_b64 s[40:41], s[6:7]
	s_cbranch_execz .LBB24_227
; %bb.226:
	s_add_u32 s8, s4, 0x90
	s_addc_u32 s9, s5, 0
	s_getpc_b64 s[4:5]
	s_add_u32 s4, s4, __PRETTY_FUNCTION__._ZN9rocsolver6v33100L21shell_sort_descendingIdiEEvT0_PT_PS2_@rel32@lo+4
	s_addc_u32 s5, s5, __PRETTY_FUNCTION__._ZN9rocsolver6v33100L21shell_sort_descendingIdiEEvT0_PT_PS2_@rel32@hi+12
	v_mov_b32_e32 v0, s4
	v_mov_b32_e32 v1, s5
	s_getpc_b64 s[6:7]
	s_add_u32 s6, s6, __assert_fail@rel32@lo+4
	s_addc_u32 s7, s7, __assert_fail@rel32@hi+12
	s_swappc_b64 s[30:31], s[6:7]
	s_or_b64 s[64:65], s[64:65], exec
.LBB24_227:
	s_or_b64 exec, exec, s[40:41]
.LBB24_228:
	s_and_saveexec_b64 s[4:5], s[64:65]
; %bb.229:
	; divergent unreachable
; %bb.230:
	s_or_b64 exec, exec, s[4:5]
	s_and_saveexec_b64 s[4:5], s[58:59]
	s_cbranch_execz .LBB24_232
; %bb.231:
	s_barrier
.LBB24_232:
	s_or_b64 exec, exec, s[4:5]
	s_cbranch_execnz .LBB24_256
.LBB24_233:
	s_cmp_lt_i32 s48, 2
	s_cbranch_scc1 .LBB24_256
; %bb.234:
	s_cmp_lg_u32 s49, 0
	s_cselect_b64 s[12:13], -1, 0
	s_cmp_lg_u32 s50, 0
	s_cselect_b64 s[14:15], -1, 0
	;; [unrolled: 2-line block ×3, first 2 shown]
	s_add_i32 s33, s48, -2
	s_add_u32 s18, s54, s52
	v_cndmask_b32_e64 v0, 0, 1, s[12:13]
	s_addc_u32 s21, s55, s53
	v_cmp_ne_u32_e64 s[12:13], 1, v0
	v_cndmask_b32_e64 v0, 0, 1, s[14:15]
	s_add_u32 s20, s18, 8
	v_cmp_ne_u32_e64 s[14:15], 1, v0
	v_cndmask_b32_e64 v0, 0, 1, s[16:17]
	s_mov_b32 s19, 0
	v_cmp_eq_u32_e64 s[4:5], 0, v41
	v_cmp_gt_i32_e64 s[6:7], s49, v41
	v_cmp_gt_i32_e64 s[8:9], s50, v41
	;; [unrolled: 1-line block ×3, first 2 shown]
	s_addc_u32 s21, s21, 0
	v_mul_lo_u32 v2, s47, v41
	s_mul_i32 s40, s47, s42
	v_mul_lo_u32 v3, s61, v41
	s_mul_i32 s41, s61, s42
	v_mov_b32_e32 v4, 0
	v_cmp_ne_u32_e64 s[16:17], 1, v0
	s_mov_b32 s47, 0
	s_mov_b32 s52, 0
	s_branch .LBB24_237
.LBB24_235:                             ;   in Loop: Header=BB24_237 Depth=1
	s_or_b64 exec, exec, s[24:25]
	s_waitcnt lgkmcnt(0)
	s_barrier
.LBB24_236:                             ;   in Loop: Header=BB24_237 Depth=1
	s_add_u32 s20, s20, 8
	s_addc_u32 s21, s21, 0
	s_add_i32 s47, s47, s43
	s_cmp_eq_u32 s18, s33
	s_cbranch_scc1 .LBB24_256
.LBB24_237:                             ; =>This Loop Header: Depth=1
                                        ;     Child Loop BB24_238 Depth 2
                                        ;     Child Loop BB24_245 Depth 2
	;; [unrolled: 1-line block ×4, first 2 shown]
	s_mov_b32 s18, s52
	s_lshl_b64 s[22:23], s[18:19], 3
	s_add_u32 s24, s36, s22
	s_addc_u32 s25, s37, s23
	global_load_dwordx2 v[0:1], v4, s[24:25]
	s_add_i32 s52, s52, 1
	s_mov_b64 s[30:31], s[20:21]
	s_mov_b32 s23, s52
	s_mov_b32 s22, s18
.LBB24_238:                             ;   Parent Loop BB24_237 Depth=1
                                        ; =>  This Inner Loop Header: Depth=2
	global_load_dwordx2 v[6:7], v4, s[30:31]
	s_waitcnt vmcnt(0)
	v_cmp_gt_f64_e32 vcc, v[6:7], v[0:1]
	s_and_b64 s[54:55], vcc, exec
	s_cselect_b32 s22, s23, s22
	s_add_i32 s23, s23, 1
	s_add_u32 s30, s30, 8
	s_addc_u32 s31, s31, 0
	v_cndmask_b32_e32 v1, v1, v7, vcc
	s_cmp_lt_i32 s23, s48
	v_cndmask_b32_e32 v0, v0, v6, vcc
	s_cbranch_scc1 .LBB24_238
; %bb.239:                              ;   in Loop: Header=BB24_237 Depth=1
	s_cmp_eq_u32 s22, s18
	s_barrier
	s_cbranch_scc1 .LBB24_236
; %bb.240:                              ;   in Loop: Header=BB24_237 Depth=1
	s_and_saveexec_b64 s[30:31], s[4:5]
	s_cbranch_execz .LBB24_242
; %bb.241:                              ;   in Loop: Header=BB24_237 Depth=1
	global_load_dwordx2 v[6:7], v4, s[24:25]
	s_ashr_i32 s23, s22, 31
	s_lshl_b64 s[54:55], s[22:23], 3
	s_add_u32 s54, s36, s54
	s_addc_u32 s55, s37, s55
	s_waitcnt vmcnt(0)
	global_store_dwordx2 v4, v[6:7], s[54:55]
	global_store_dwordx2 v4, v[0:1], s[24:25]
.LBB24_242:                             ;   in Loop: Header=BB24_237 Depth=1
	s_or_b64 exec, exec, s[30:31]
	s_and_b64 vcc, exec, s[12:13]
	s_cbranch_vccnz .LBB24_247
; %bb.243:                              ;   in Loop: Header=BB24_237 Depth=1
	s_and_saveexec_b64 s[24:25], s[6:7]
	s_cbranch_execz .LBB24_246
; %bb.244:                              ;   in Loop: Header=BB24_237 Depth=1
	s_mov_b64 s[30:31], 0
	v_mov_b32_e32 v0, v2
	v_mov_b32_e32 v1, v41
.LBB24_245:                             ;   Parent Loop BB24_237 Depth=1
                                        ; =>  This Inner Loop Header: Depth=2
	v_add_u32_e32 v6, s22, v0
	v_ashrrev_i32_e32 v7, 31, v6
	v_add_u32_e32 v8, s18, v0
	v_lshlrev_b64 v[6:7], 3, v[6:7]
	v_mov_b32_e32 v5, s35
	v_ashrrev_i32_e32 v9, 31, v8
	v_add_co_u32_e32 v6, vcc, s34, v6
	v_lshlrev_b64 v[8:9], 3, v[8:9]
	v_addc_co_u32_e32 v7, vcc, v5, v7, vcc
	v_add_co_u32_e32 v8, vcc, s34, v8
	v_addc_co_u32_e32 v9, vcc, v5, v9, vcc
	flat_load_dwordx2 v[10:11], v[8:9]
	flat_load_dwordx2 v[12:13], v[6:7]
	v_add_u32_e32 v1, s42, v1
	v_cmp_le_i32_e32 vcc, s49, v1
	v_add_u32_e32 v0, s40, v0
	s_or_b64 s[30:31], vcc, s[30:31]
	s_waitcnt vmcnt(0) lgkmcnt(0)
	flat_store_dwordx2 v[6:7], v[10:11]
	flat_store_dwordx2 v[8:9], v[12:13]
	s_andn2_b64 exec, exec, s[30:31]
	s_cbranch_execnz .LBB24_245
.LBB24_246:                             ;   in Loop: Header=BB24_237 Depth=1
	s_or_b64 exec, exec, s[24:25]
	s_waitcnt lgkmcnt(0)
	s_barrier
.LBB24_247:                             ;   in Loop: Header=BB24_237 Depth=1
	s_and_b64 vcc, exec, s[14:15]
	s_cbranch_vccnz .LBB24_252
; %bb.248:                              ;   in Loop: Header=BB24_237 Depth=1
	s_and_saveexec_b64 s[24:25], s[8:9]
	s_cbranch_execz .LBB24_251
; %bb.249:                              ;   in Loop: Header=BB24_237 Depth=1
	s_mul_i32 s23, s22, s43
	s_mov_b64 s[30:31], 0
	v_mov_b32_e32 v0, v41
.LBB24_250:                             ;   Parent Loop BB24_237 Depth=1
                                        ; =>  This Inner Loop Header: Depth=2
	v_add_u32_e32 v6, s23, v0
	v_ashrrev_i32_e32 v7, 31, v6
	v_add_u32_e32 v8, s47, v0
	v_lshlrev_b64 v[6:7], 3, v[6:7]
	v_mov_b32_e32 v1, s29
	v_ashrrev_i32_e32 v9, 31, v8
	v_add_co_u32_e32 v6, vcc, s28, v6
	v_lshlrev_b64 v[8:9], 3, v[8:9]
	v_addc_co_u32_e32 v7, vcc, v1, v7, vcc
	v_add_co_u32_e32 v8, vcc, s28, v8
	v_addc_co_u32_e32 v9, vcc, v1, v9, vcc
	flat_load_dwordx2 v[10:11], v[8:9]
	flat_load_dwordx2 v[12:13], v[6:7]
	v_add_u32_e32 v0, s42, v0
	v_cmp_le_i32_e32 vcc, s50, v0
	s_or_b64 s[30:31], vcc, s[30:31]
	s_waitcnt vmcnt(0) lgkmcnt(0)
	flat_store_dwordx2 v[6:7], v[10:11]
	flat_store_dwordx2 v[8:9], v[12:13]
	s_andn2_b64 exec, exec, s[30:31]
	s_cbranch_execnz .LBB24_250
.LBB24_251:                             ;   in Loop: Header=BB24_237 Depth=1
	s_or_b64 exec, exec, s[24:25]
	s_waitcnt lgkmcnt(0)
	s_barrier
.LBB24_252:                             ;   in Loop: Header=BB24_237 Depth=1
	s_and_b64 vcc, exec, s[16:17]
	s_cbranch_vccnz .LBB24_236
; %bb.253:                              ;   in Loop: Header=BB24_237 Depth=1
	s_and_saveexec_b64 s[24:25], s[10:11]
	s_cbranch_execz .LBB24_235
; %bb.254:                              ;   in Loop: Header=BB24_237 Depth=1
	s_mov_b64 s[30:31], 0
	v_mov_b32_e32 v0, v3
	v_mov_b32_e32 v1, v41
.LBB24_255:                             ;   Parent Loop BB24_237 Depth=1
                                        ; =>  This Inner Loop Header: Depth=2
	v_add_u32_e32 v6, s22, v0
	v_ashrrev_i32_e32 v7, 31, v6
	v_add_u32_e32 v8, s18, v0
	v_lshlrev_b64 v[6:7], 3, v[6:7]
	v_mov_b32_e32 v5, s45
	v_ashrrev_i32_e32 v9, 31, v8
	v_add_co_u32_e32 v6, vcc, s44, v6
	v_lshlrev_b64 v[8:9], 3, v[8:9]
	v_addc_co_u32_e32 v7, vcc, v5, v7, vcc
	v_add_co_u32_e32 v8, vcc, s44, v8
	v_addc_co_u32_e32 v9, vcc, v5, v9, vcc
	flat_load_dwordx2 v[10:11], v[8:9]
	flat_load_dwordx2 v[12:13], v[6:7]
	v_add_u32_e32 v1, s42, v1
	v_cmp_le_i32_e32 vcc, s51, v1
	v_add_u32_e32 v0, s41, v0
	s_or_b64 s[30:31], vcc, s[30:31]
	s_waitcnt vmcnt(0) lgkmcnt(0)
	flat_store_dwordx2 v[6:7], v[10:11]
	flat_store_dwordx2 v[8:9], v[12:13]
	s_andn2_b64 exec, exec, s[30:31]
	s_cbranch_execnz .LBB24_255
	s_branch .LBB24_235
.LBB24_256:
	s_mov_b64 s[6:7], 0
.LBB24_257:
	s_andn2_b64 vcc, exec, s[6:7]
	s_cbranch_vccnz .LBB24_260
; %bb.258:
	v_cmp_eq_u32_e32 vcc, 0, v41
	s_and_saveexec_b64 s[4:5], vcc
	s_cbranch_execz .LBB24_260
; %bb.259:
	s_add_u32 s4, s38, s26
	s_addc_u32 s5, s39, s27
	v_mov_b32_e32 v0, 0
	v_mov_b32_e32 v1, s46
	global_store_dword v0, v1, s[4:5]
.LBB24_260:
	s_endpgm
	.section	.rodata,"a",@progbits
	.p2align	6, 0x0
	.amdhsa_kernel _ZN9rocsolver6v33100L14bdsqr_finalizeIddPdS2_S2_EEviiiiPT0_lS4_lT1_iilT2_iilT3_iilPiS8_S8_
		.amdhsa_group_segment_fixed_size 0
		.amdhsa_private_segment_fixed_size 64
		.amdhsa_kernarg_size 400
		.amdhsa_user_sgpr_count 8
		.amdhsa_user_sgpr_private_segment_buffer 1
		.amdhsa_user_sgpr_dispatch_ptr 0
		.amdhsa_user_sgpr_queue_ptr 0
		.amdhsa_user_sgpr_kernarg_segment_ptr 1
		.amdhsa_user_sgpr_dispatch_id 0
		.amdhsa_user_sgpr_flat_scratch_init 1
		.amdhsa_user_sgpr_kernarg_preload_length 0
		.amdhsa_user_sgpr_kernarg_preload_offset 0
		.amdhsa_user_sgpr_private_segment_size 0
		.amdhsa_uses_dynamic_stack 0
		.amdhsa_system_sgpr_private_segment_wavefront_offset 1
		.amdhsa_system_sgpr_workgroup_id_x 1
		.amdhsa_system_sgpr_workgroup_id_y 1
		.amdhsa_system_sgpr_workgroup_id_z 0
		.amdhsa_system_sgpr_workgroup_info 0
		.amdhsa_system_vgpr_workitem_id 2
		.amdhsa_next_free_vgpr 45
		.amdhsa_next_free_sgpr 78
		.amdhsa_accum_offset 48
		.amdhsa_reserve_vcc 1
		.amdhsa_reserve_flat_scratch 1
		.amdhsa_float_round_mode_32 0
		.amdhsa_float_round_mode_16_64 0
		.amdhsa_float_denorm_mode_32 3
		.amdhsa_float_denorm_mode_16_64 3
		.amdhsa_dx10_clamp 1
		.amdhsa_ieee_mode 1
		.amdhsa_fp16_overflow 0
		.amdhsa_tg_split 0
		.amdhsa_exception_fp_ieee_invalid_op 0
		.amdhsa_exception_fp_denorm_src 0
		.amdhsa_exception_fp_ieee_div_zero 0
		.amdhsa_exception_fp_ieee_overflow 0
		.amdhsa_exception_fp_ieee_underflow 0
		.amdhsa_exception_fp_ieee_inexact 0
		.amdhsa_exception_int_div_zero 0
	.end_amdhsa_kernel
	.section	.text._ZN9rocsolver6v33100L14bdsqr_finalizeIddPdS2_S2_EEviiiiPT0_lS4_lT1_iilT2_iilT3_iilPiS8_S8_,"axG",@progbits,_ZN9rocsolver6v33100L14bdsqr_finalizeIddPdS2_S2_EEviiiiPT0_lS4_lT1_iilT2_iilT3_iilPiS8_S8_,comdat
.Lfunc_end24:
	.size	_ZN9rocsolver6v33100L14bdsqr_finalizeIddPdS2_S2_EEviiiiPT0_lS4_lT1_iilT2_iilT3_iilPiS8_S8_, .Lfunc_end24-_ZN9rocsolver6v33100L14bdsqr_finalizeIddPdS2_S2_EEviiiiPT0_lS4_lT1_iilT2_iilT3_iilPiS8_S8_
                                        ; -- End function
	.section	.AMDGPU.csdata,"",@progbits
; Kernel info:
; codeLenInByte = 7824
; NumSgprs: 84
; NumVgprs: 45
; NumAgprs: 0
; TotalNumVgprs: 45
; ScratchSize: 64
; MemoryBound: 0
; FloatMode: 240
; IeeeMode: 1
; LDSByteSize: 0 bytes/workgroup (compile time only)
; SGPRBlocks: 10
; VGPRBlocks: 5
; NumSGPRsForWavesPerEU: 84
; NumVGPRsForWavesPerEU: 45
; AccumOffset: 48
; Occupancy: 8
; WaveLimiterHint : 1
; COMPUTE_PGM_RSRC2:SCRATCH_EN: 1
; COMPUTE_PGM_RSRC2:USER_SGPR: 8
; COMPUTE_PGM_RSRC2:TRAP_HANDLER: 0
; COMPUTE_PGM_RSRC2:TGID_X_EN: 1
; COMPUTE_PGM_RSRC2:TGID_Y_EN: 1
; COMPUTE_PGM_RSRC2:TGID_Z_EN: 0
; COMPUTE_PGM_RSRC2:TIDIG_COMP_CNT: 2
; COMPUTE_PGM_RSRC3_GFX90A:ACCUM_OFFSET: 11
; COMPUTE_PGM_RSRC3_GFX90A:TG_SPLIT: 0
	.section	.text._ZN9rocsolver6v33100L10bdsqr_initI19rocblas_complex_numIfEfEEviPT0_lS5_lPiiS4_S4_S6_S5_lS6_,"axG",@progbits,_ZN9rocsolver6v33100L10bdsqr_initI19rocblas_complex_numIfEfEEviPT0_lS5_lPiiS4_S4_S6_S5_lS6_,comdat
	.globl	_ZN9rocsolver6v33100L10bdsqr_initI19rocblas_complex_numIfEfEEviPT0_lS5_lPiiS4_S4_S6_S5_lS6_ ; -- Begin function _ZN9rocsolver6v33100L10bdsqr_initI19rocblas_complex_numIfEfEEviPT0_lS5_lPiiS4_S4_S6_S5_lS6_
	.p2align	8
	.type	_ZN9rocsolver6v33100L10bdsqr_initI19rocblas_complex_numIfEfEEviPT0_lS5_lPiiS4_S4_S6_S5_lS6_,@function
_ZN9rocsolver6v33100L10bdsqr_initI19rocblas_complex_numIfEfEEviPT0_lS5_lPiiS4_S4_S6_S5_lS6_: ; @_ZN9rocsolver6v33100L10bdsqr_initI19rocblas_complex_numIfEfEEviPT0_lS5_lPiiS4_S4_S6_S5_lS6_
; %bb.0:
	s_load_dword s6, s[4:5], 0x0
	s_load_dwordx8 s[8:15], s[4:5], 0x8
	s_mov_b32 s16, s7
	s_ashr_i32 s17, s7, 31
	s_waitcnt lgkmcnt(0)
	s_ashr_i32 s7, s6, 31
	s_mul_i32 s0, s16, s11
	s_mul_hi_u32 s1, s16, s10
	s_add_i32 s0, s1, s0
	s_mul_i32 s1, s17, s10
	s_add_i32 s1, s0, s1
	s_mul_i32 s0, s16, s10
	s_lshl_b64 s[0:1], s[0:1], 2
	s_add_u32 s18, s8, s0
	s_addc_u32 s19, s9, s1
	s_mul_i32 s0, s16, s15
	s_mul_hi_u32 s1, s16, s14
	s_add_i32 s0, s1, s0
	s_mul_i32 s1, s17, s14
	s_add_i32 s1, s0, s1
	s_mul_i32 s0, s16, s14
	s_lshl_b64 s[0:1], s[0:1], 2
	s_add_u32 s20, s12, s0
	s_addc_u32 s21, s13, s1
	s_lshl_b64 s[0:1], s[6:7], 2
	s_add_u32 s22, s18, s0
	s_addc_u32 s23, s19, s1
	s_add_u32 s0, s22, -4
	s_addc_u32 s1, s23, -1
	s_load_dword s8, s[0:1], 0x0
	s_load_dword s9, s[18:19], 0x0
	s_load_dwordx2 s[24:25], s[4:5], 0x28
	v_cmp_lt_i64_e64 s[2:3], s[6:7], 2
	v_cmp_gt_i64_e64 s[26:27], s[6:7], 1
	s_waitcnt lgkmcnt(0)
	v_mov_b32_e32 v0, s8
	v_mov_b32_e32 v1, s9
	v_cmp_ge_f32_e64 s[0:1], s9, v0
	v_cndmask_b32_e64 v0, v0, v1, s[0:1]
	v_and_b32_e32 v4, 0x7fffffff, v0
	s_and_b64 vcc, exec, s[2:3]
	s_cbranch_vccnz .LBB25_3
; %bb.1:
	s_add_i32 s2, s6, -2
	s_mov_b32 s3, 1
	v_mov_b32_e32 v0, v4
.LBB25_2:                               ; =>This Inner Loop Header: Depth=1
	s_and_b64 s[8:9], s[0:1], exec
	s_cselect_b32 s8, s3, s2
	s_add_i32 s7, s3, -1
	s_and_b64 s[10:11], s[0:1], exec
	s_cselect_b32 s10, s7, s2
	s_ashr_i32 s11, s10, 31
	s_lshl_b64 s[10:11], s[10:11], 2
	s_add_u32 s10, s20, s10
	s_addc_u32 s11, s21, s11
	s_load_dword s7, s[10:11], 0x0
	s_ashr_i32 s9, s8, 31
	s_lshl_b64 s[8:9], s[8:9], 2
	s_add_u32 s8, s18, s8
	s_addc_u32 s9, s19, s9
	s_waitcnt lgkmcnt(0)
	v_add_f32_e64 v1, v0, |s7|
	s_load_dword s10, s[8:9], 0x0
	v_div_scale_f32 v2, s[8:9], v1, v1, v0
	v_rcp_f32_e32 v3, v2
	v_div_scale_f32 v5, vcc, v0, v1, v0
	s_add_i32 s2, s2, -1
	v_fma_f32 v6, -v2, v3, 1.0
	v_fmac_f32_e32 v3, v6, v3
	v_mul_f32_e32 v6, v5, v3
	v_fma_f32 v7, -v2, v6, v5
	v_fmac_f32_e32 v6, v7, v3
	v_fma_f32 v2, -v2, v6, v5
	v_div_fmas_f32 v2, v2, v3, v6
	v_div_fixup_f32 v0, v2, v1, v0
	s_waitcnt lgkmcnt(0)
	v_mul_f32_e64 v0, |s10|, v0
	s_add_i32 s3, s3, 1
	v_cmp_lt_f32_e32 vcc, v0, v4
	s_cmp_lg_u32 s3, s6
	v_cndmask_b32_e32 v4, v4, v0, vcc
	s_cbranch_scc1 .LBB25_2
.LBB25_3:
	s_load_dwordx4 s[0:3], s[4:5], 0x30
	s_load_dwordx8 s[8:15], s[4:5], 0x40
	s_lshl_b32 s31, s6, 1
	s_mul_i32 s4, s31, s16
	s_ashr_i32 s5, s4, 31
	s_lshl_b64 s[4:5], s[4:5], 2
	s_waitcnt lgkmcnt(0)
	s_add_u32 s29, s8, s4
	s_addc_u32 s30, s9, s5
	s_mov_b32 s8, 0
	v_cvt_f64_i32_e32 v[0:1], s6
	s_brev_b32 s9, 8
	v_cmp_gt_f64_e32 vcc, s[8:9], v[0:1]
	v_cndmask_b32_e64 v2, 0, 1, vcc
	v_lshlrev_b32_e32 v2, 8, v2
	v_ldexp_f64 v[0:1], v[0:1], v2
	v_rsq_f64_e32 v[2:3], v[0:1]
	s_mul_i32 s3, s16, s13
	s_mul_hi_u32 s4, s16, s12
	s_add_i32 s3, s4, s3
	s_mul_i32 s4, s17, s12
	v_mul_f64 v[6:7], v[0:1], v[2:3]
	v_mul_f64 v[2:3], v[2:3], 0.5
	s_add_i32 s5, s3, s4
	s_mul_i32 s4, s16, s12
	v_fma_f64 v[8:9], -v[2:3], v[6:7], 0.5
	s_lshl_b64 s[4:5], s[4:5], 2
	v_fmac_f64_e32 v[6:7], v[6:7], v[8:9]
	s_add_u32 s4, s10, s4
	v_fma_f64 v[10:11], -v[6:7], v[6:7], v[0:1]
	v_fmac_f64_e32 v[2:3], v[2:3], v[8:9]
	s_addc_u32 s5, s11, s5
	s_add_i32 s7, s6, -1
	v_fmac_f64_e32 v[6:7], v[10:11], v[2:3]
	v_mul_f32_e32 v5, s2, v4
	v_fma_f64 v[8:9], -v[6:7], v[6:7], v[0:1]
	s_and_b64 s[2:3], vcc, exec
	v_fmac_f64_e32 v[6:7], v[8:9], v[2:3]
	s_cselect_b32 s2, 0xffffff80, 0
	v_ldexp_f64 v[2:3], v[6:7], s2
	v_mov_b32_e32 v6, 0x260
	v_cmp_class_f64_e32 vcc, v[0:1], v6
	v_cndmask_b32_e32 v1, v3, v1, vcc
	v_cndmask_b32_e32 v0, v2, v0, vcc
	v_cvt_f32_f64_e32 v1, v[0:1]
	v_div_scale_f32 v2, s[2:3], v1, v1, v5
	v_rcp_f32_e32 v3, v2
	v_mov_b32_e32 v0, 0
	s_mov_b32 s28, 0
	s_mov_b64 s[2:3], 0
	v_fma_f32 v6, -v2, v3, 1.0
	v_fmac_f32_e32 v3, v6, v3
	v_div_scale_f32 v6, vcc, v5, v1, v5
	v_mul_f32_e32 v7, v6, v3
	v_fma_f32 v8, -v2, v7, v6
	v_fmac_f32_e32 v7, v8, v3
	v_fma_f32 v2, -v2, v7, v6
	v_cvt_f32_i32_e32 v6, s0
	v_div_fmas_f32 v2, v2, v3, v7
	v_div_fixup_f32 v1, v2, v1, v5
	s_mov_b32 s8, 0
	v_mul_f32_e32 v2, s1, v6
	v_cmp_lt_f32_e32 vcc, v1, v2
	v_cndmask_b32_e32 v5, v1, v2, vcc
	v_cndmask_b32_e64 v1, 0, 1, s[26:27]
	v_cmp_ne_u32_e64 s[0:1], 1, v1
	s_andn2_b64 vcc, exec, s[26:27]
	global_store_dwordx2 v0, v[4:5], s[4:5]
	s_cbranch_vccnz .LBB25_20
; %bb.4:
	s_add_u32 s33, s29, 4
	s_mov_b32 s11, 0
	s_addc_u32 s34, s30, 0
	s_movk_i32 s35, 0x1f8
	s_mov_b32 s8, s11
	s_mov_b32 s10, s11
	s_lshl_b32 s12, s10, 2
	s_or_b32 s9, s12, 3
	s_cmp_ge_i32 s9, s31
	s_cbranch_scc1 .LBB25_6
.LBB25_5:
	s_mov_b32 s13, s11
	s_lshl_b64 s[12:13], s[12:13], 2
	s_add_u32 s12, s29, s12
	s_addc_u32 s13, s30, s13
	s_waitcnt vmcnt(0)
	v_mov_b32_e32 v1, v0
	v_mov_b32_e32 v2, v0
	;; [unrolled: 1-line block ×3, first 2 shown]
	global_store_dwordx4 v0, v[0:3], s[12:13]
	s_waitcnt vmcnt(0)
	buffer_wbinvl1_vol
.LBB25_6:                               ; =>This Inner Loop Header: Depth=1
	s_lshl_b64 s[12:13], s[10:11], 2
	s_add_u32 s26, s18, s12
	s_addc_u32 s27, s19, s13
	global_load_dword v2, v0, s[26:27]
	s_add_u32 s12, s20, s12
	s_addc_u32 s13, s21, s13
	global_load_dword v1, v0, s[12:13]
	s_waitcnt vmcnt(1)
	v_cmp_class_f32_e64 s[26:27], v2, s35
	s_and_b64 vcc, exec, s[26:27]
	s_cbranch_vccz .LBB25_19
; %bb.7:                                ;   in Loop: Header=BB25_6 Depth=1
	s_waitcnt vmcnt(0)
	v_cmp_class_f32_e64 s[26:27], v1, s35
	s_and_b64 vcc, exec, s[26:27]
	s_cbranch_vccnz .LBB25_9
; %bb.8:                                ;   in Loop: Header=BB25_6 Depth=1
	s_mov_b64 s[2:3], -1
.LBB25_9:                               ;   in Loop: Header=BB25_6 Depth=1
	v_and_b32_e32 v2, 0x7fffffff, v1
	s_cbranch_execnz .LBB25_11
.LBB25_10:                              ;   in Loop: Header=BB25_6 Depth=1
	s_waitcnt vmcnt(0)
	v_and_b32_e32 v2, 0x7fffffff, v1
	s_mov_b64 s[2:3], -1
.LBB25_11:                              ;   in Loop: Header=BB25_6 Depth=1
	v_cmp_lt_f32_e32 vcc, v2, v5
	s_mov_b64 s[26:27], -1
                                        ; implicit-def: $sgpr9
	s_cbranch_vccz .LBB25_14
; %bb.12:                               ;   in Loop: Header=BB25_6 Depth=1
	s_andn2_b64 vcc, exec, s[26:27]
	s_cbranch_vccz .LBB25_15
.LBB25_13:                              ;   in Loop: Header=BB25_6 Depth=1
	s_cmp_eq_u32 s9, s7
	s_cbranch_scc0 .LBB25_18
	s_branch .LBB25_20
.LBB25_14:                              ;   in Loop: Header=BB25_6 Depth=1
	s_add_i32 s9, s10, 1
	s_cbranch_execnz .LBB25_13
.LBB25_15:                              ;   in Loop: Header=BB25_6 Depth=1
	s_cmp_ge_i32 s8, s10
	global_store_dword v0, v0, s[12:13]
	s_cbranch_scc1 .LBB25_17
; %bb.16:                               ;   in Loop: Header=BB25_6 Depth=1
	s_lshl_b32 s12, s28, 2
	s_ashr_i32 s13, s12, 31
	s_lshl_b64 s[12:13], s[12:13], 2
	s_mov_b32 s9, s10
	s_add_u32 s12, s33, s12
	s_addc_u32 s13, s34, s13
	v_pk_mov_b32 v[2:3], s[8:9], s[8:9] op_sel:[0,1]
	s_add_i32 s28, s28, 1
	global_store_dwordx2 v0, v[2:3], s[12:13]
.LBB25_17:                              ;   in Loop: Header=BB25_6 Depth=1
	s_add_i32 s9, s10, 1
	s_mov_b32 s8, s9
	s_cmp_eq_u32 s9, s7
	s_cbranch_scc1 .LBB25_20
.LBB25_18:                              ;   in Loop: Header=BB25_6 Depth=1
	s_mov_b32 s10, s9
	s_lshl_b32 s12, s10, 2
	s_or_b32 s9, s12, 3
	s_cmp_ge_i32 s9, s31
	s_cbranch_scc0 .LBB25_5
	s_branch .LBB25_6
.LBB25_19:                              ;   in Loop: Header=BB25_6 Depth=1
                                        ; implicit-def: $sgpr2_sgpr3
                                        ; implicit-def: $vgpr2
	s_branch .LBB25_10
.LBB25_20:
	s_waitcnt vmcnt(0)
	v_mov_b32_e32 v1, 0
	global_load_dword v0, v1, s[22:23] offset:-4
	s_cmp_lt_i32 s8, s7
	s_cbranch_scc0 .LBB25_22
; %bb.21:
	s_lshl_b32 s10, s28, 2
	s_ashr_i32 s11, s10, 31
	s_lshl_b64 s[10:11], s[10:11], 2
	s_add_u32 s10, s29, s10
	s_addc_u32 s11, s30, s11
	v_mov_b32_e32 v2, s8
	v_mov_b32_e32 v3, s7
	global_store_dwordx2 v1, v[2:3], s[10:11] offset:4
.LBB25_22:
	s_mov_b32 s8, 0x7f800000
	s_waitcnt vmcnt(0)
	v_cmp_nlg_f32_e64 s[8:9], |v0|, s8
	s_or_b64 s[2:3], s[8:9], s[2:3]
	s_andn2_b64 vcc, exec, s[2:3]
	s_mov_b64 s[2:3], -1
	s_cbranch_vccz .LBB25_28
; %bb.23:
	s_add_i32 s8, s28, 1
	v_cvt_f32_i32_e32 v0, s8
	s_lshl_b64 s[2:3], s[16:17], 2
	s_add_u32 s2, s24, s2
	s_addc_u32 s3, s25, s3
	v_mov_b32_e32 v1, 0
	s_cmp_lt_i32 s28, 0
	global_store_dwordx2 v1, v[0:1], s[4:5] offset:8
	global_store_dword v1, v1, s[2:3]
	s_cbranch_scc1 .LBB25_27
; %bb.24:
	s_mov_b64 s[2:3], 0
	v_mov_b32_e32 v3, 0
.LBB25_25:                              ; =>This Inner Loop Header: Depth=1
	v_mov_b32_e32 v2, s8
	global_atomic_cmpswap v3, v1, v[2:3], s[14:15] offset:4 glc
	s_waitcnt vmcnt(0)
	v_cmp_lt_i32_e32 vcc, s28, v3
	s_or_b64 s[2:3], vcc, s[2:3]
	s_andn2_b64 exec, exec, s[2:3]
	s_cbranch_execnz .LBB25_25
; %bb.26:
	s_or_b64 exec, exec, s[2:3]
.LBB25_27:
	s_mov_b64 s[2:3], 0
.LBB25_28:
	s_andn2_b64 vcc, exec, s[2:3]
	s_cbranch_vccnz .LBB25_34
; %bb.29:
	s_and_b64 vcc, exec, s[0:1]
	s_cbranch_vccnz .LBB25_32
; %bb.30:
	v_mov_b32_e32 v0, 0
	v_mov_b32_e32 v1, 0x7fc00000
.LBB25_31:                              ; =>This Inner Loop Header: Depth=1
	s_add_i32 s7, s7, -1
	global_store_dword v0, v1, s[18:19]
	global_store_dword v0, v1, s[20:21]
	s_add_u32 s18, s18, 4
	s_addc_u32 s19, s19, 0
	s_add_u32 s20, s20, 4
	s_addc_u32 s21, s21, 0
	s_cmp_eq_u32 s7, 0
	s_cbranch_scc0 .LBB25_31
.LBB25_32:
	s_lshl_b64 s[2:3], s[16:17], 2
	s_add_u32 s4, s24, s2
	v_mov_b32_e32 v0, 0
	v_mov_b32_e32 v1, 0x7fc00000
	s_addc_u32 s5, s25, s3
	global_store_dword v0, v1, s[22:23] offset:-4
	v_mov_b32_e32 v1, s6
	s_add_u32 s2, s14, s2
	s_mov_b64 s[0:1], exec
	global_store_dword v0, v1, s[4:5]
	s_addc_u32 s3, s15, s3
	v_mov_b32_e32 v1, 2
	global_store_dword v0, v1, s[2:3] offset:8
	v_mbcnt_lo_u32_b32 v1, s0, 0
	v_mbcnt_hi_u32_b32 v1, s1, v1
	v_cmp_eq_u32_e32 vcc, 0, v1
	s_and_saveexec_b64 s[2:3], vcc
	s_cbranch_execz .LBB25_34
; %bb.33:
	s_bcnt1_i32_b64 s0, s[0:1]
	v_mov_b32_e32 v1, s0
	global_atomic_add v0, v1, s[14:15]
.LBB25_34:
	s_endpgm
	.section	.rodata,"a",@progbits
	.p2align	6, 0x0
	.amdhsa_kernel _ZN9rocsolver6v33100L10bdsqr_initI19rocblas_complex_numIfEfEEviPT0_lS5_lPiiS4_S4_S6_S5_lS6_
		.amdhsa_group_segment_fixed_size 0
		.amdhsa_private_segment_fixed_size 0
		.amdhsa_kernarg_size 96
		.amdhsa_user_sgpr_count 6
		.amdhsa_user_sgpr_private_segment_buffer 1
		.amdhsa_user_sgpr_dispatch_ptr 0
		.amdhsa_user_sgpr_queue_ptr 0
		.amdhsa_user_sgpr_kernarg_segment_ptr 1
		.amdhsa_user_sgpr_dispatch_id 0
		.amdhsa_user_sgpr_flat_scratch_init 0
		.amdhsa_user_sgpr_kernarg_preload_length 0
		.amdhsa_user_sgpr_kernarg_preload_offset 0
		.amdhsa_user_sgpr_private_segment_size 0
		.amdhsa_uses_dynamic_stack 0
		.amdhsa_system_sgpr_private_segment_wavefront_offset 0
		.amdhsa_system_sgpr_workgroup_id_x 1
		.amdhsa_system_sgpr_workgroup_id_y 1
		.amdhsa_system_sgpr_workgroup_id_z 0
		.amdhsa_system_sgpr_workgroup_info 0
		.amdhsa_system_vgpr_workitem_id 0
		.amdhsa_next_free_vgpr 12
		.amdhsa_next_free_sgpr 36
		.amdhsa_accum_offset 12
		.amdhsa_reserve_vcc 1
		.amdhsa_reserve_flat_scratch 0
		.amdhsa_float_round_mode_32 0
		.amdhsa_float_round_mode_16_64 0
		.amdhsa_float_denorm_mode_32 3
		.amdhsa_float_denorm_mode_16_64 3
		.amdhsa_dx10_clamp 1
		.amdhsa_ieee_mode 1
		.amdhsa_fp16_overflow 0
		.amdhsa_tg_split 0
		.amdhsa_exception_fp_ieee_invalid_op 0
		.amdhsa_exception_fp_denorm_src 0
		.amdhsa_exception_fp_ieee_div_zero 0
		.amdhsa_exception_fp_ieee_overflow 0
		.amdhsa_exception_fp_ieee_underflow 0
		.amdhsa_exception_fp_ieee_inexact 0
		.amdhsa_exception_int_div_zero 0
	.end_amdhsa_kernel
	.section	.text._ZN9rocsolver6v33100L10bdsqr_initI19rocblas_complex_numIfEfEEviPT0_lS5_lPiiS4_S4_S6_S5_lS6_,"axG",@progbits,_ZN9rocsolver6v33100L10bdsqr_initI19rocblas_complex_numIfEfEEviPT0_lS5_lPiiS4_S4_S6_S5_lS6_,comdat
.Lfunc_end25:
	.size	_ZN9rocsolver6v33100L10bdsqr_initI19rocblas_complex_numIfEfEEviPT0_lS5_lPiiS4_S4_S6_S5_lS6_, .Lfunc_end25-_ZN9rocsolver6v33100L10bdsqr_initI19rocblas_complex_numIfEfEEviPT0_lS5_lPiiS4_S4_S6_S5_lS6_
                                        ; -- End function
	.section	.AMDGPU.csdata,"",@progbits
; Kernel info:
; codeLenInByte = 1496
; NumSgprs: 40
; NumVgprs: 12
; NumAgprs: 0
; TotalNumVgprs: 12
; ScratchSize: 0
; MemoryBound: 0
; FloatMode: 240
; IeeeMode: 1
; LDSByteSize: 0 bytes/workgroup (compile time only)
; SGPRBlocks: 4
; VGPRBlocks: 1
; NumSGPRsForWavesPerEU: 40
; NumVGPRsForWavesPerEU: 12
; AccumOffset: 12
; Occupancy: 8
; WaveLimiterHint : 0
; COMPUTE_PGM_RSRC2:SCRATCH_EN: 0
; COMPUTE_PGM_RSRC2:USER_SGPR: 6
; COMPUTE_PGM_RSRC2:TRAP_HANDLER: 0
; COMPUTE_PGM_RSRC2:TGID_X_EN: 1
; COMPUTE_PGM_RSRC2:TGID_Y_EN: 1
; COMPUTE_PGM_RSRC2:TGID_Z_EN: 0
; COMPUTE_PGM_RSRC2:TIDIG_COMP_CNT: 0
; COMPUTE_PGM_RSRC3_GFX90A:ACCUM_OFFSET: 2
; COMPUTE_PGM_RSRC3_GFX90A:TG_SPLIT: 0
	.section	.text._ZN9rocsolver6v33100L11swap_kernelI19rocblas_complex_numIfEiEEvT0_PT_S4_S6_S4_,"axG",@progbits,_ZN9rocsolver6v33100L11swap_kernelI19rocblas_complex_numIfEiEEvT0_PT_S4_S6_S4_,comdat
	.globl	_ZN9rocsolver6v33100L11swap_kernelI19rocblas_complex_numIfEiEEvT0_PT_S4_S6_S4_ ; -- Begin function _ZN9rocsolver6v33100L11swap_kernelI19rocblas_complex_numIfEiEEvT0_PT_S4_S6_S4_
	.p2align	8
	.type	_ZN9rocsolver6v33100L11swap_kernelI19rocblas_complex_numIfEiEEvT0_PT_S4_S6_S4_,@function
_ZN9rocsolver6v33100L11swap_kernelI19rocblas_complex_numIfEiEEvT0_PT_S4_S6_S4_: ; @_ZN9rocsolver6v33100L11swap_kernelI19rocblas_complex_numIfEiEEvT0_PT_S4_S6_S4_
; %bb.0:
	s_load_dword s16, s[4:5], 0x0
	s_waitcnt lgkmcnt(0)
	s_cmp_lt_i32 s16, 1
	s_cbranch_scc1 .LBB26_10
; %bb.1:
	s_load_dword s0, s[4:5], 0x28
	s_load_dword s1, s[4:5], 0x34
	s_load_dwordx2 s[2:3], s[4:5], 0x8
	s_load_dword s12, s[4:5], 0x10
	s_load_dwordx2 s[8:9], s[4:5], 0x18
	s_load_dword s10, s[4:5], 0x20
	s_waitcnt lgkmcnt(0)
	s_and_b32 s1, s1, 0xffff
	s_mul_i32 s6, s6, s1
	s_cmp_eq_u32 s12, 1
	s_mul_i32 s4, s0, s1
	s_cselect_b64 s[0:1], -1, 0
	s_cmp_eq_u32 s10, 1
	v_add_u32_e32 v0, s6, v0
	s_cselect_b64 s[6:7], -1, 0
	s_and_b64 s[14:15], s[0:1], s[6:7]
	v_cmp_gt_i32_e64 s[0:1], s16, v0
	s_mov_b64 s[6:7], -1
	s_and_b64 vcc, exec, s[14:15]
	s_cbranch_vccnz .LBB26_6
; %bb.2:
	s_and_saveexec_b64 s[6:7], s[0:1]
	s_cbranch_execz .LBB26_5
; %bb.3:
	v_mad_i64_i32 v[2:3], s[14:15], s10, v0, 0
	v_lshlrev_b64 v[2:3], 3, v[2:3]
	v_mov_b32_e32 v1, s9
	v_add_co_u32_e32 v2, vcc, s8, v2
	v_mad_i64_i32 v[4:5], s[14:15], s12, v0, 0
	v_addc_co_u32_e32 v3, vcc, v1, v3, vcc
	s_mul_hi_i32 s11, s10, s4
	s_mul_i32 s10, s10, s4
	v_lshlrev_b64 v[4:5], 3, v[4:5]
	s_mul_hi_i32 s13, s12, s4
	s_mul_i32 s12, s12, s4
	s_lshl_b64 s[10:11], s[10:11], 3
	v_mov_b32_e32 v1, s3
	v_add_co_u32_e32 v4, vcc, s2, v4
	s_lshl_b64 s[12:13], s[12:13], 3
	v_addc_co_u32_e32 v5, vcc, v1, v5, vcc
	s_mov_b64 s[14:15], 0
	v_mov_b32_e32 v1, s11
	v_mov_b32_e32 v6, s13
	;; [unrolled: 1-line block ×3, first 2 shown]
.LBB26_4:                               ; =>This Inner Loop Header: Depth=1
	global_load_dwordx2 v[8:9], v[4:5], off
	global_load_dwordx2 v[10:11], v[2:3], off
	v_add_u32_e32 v7, s4, v7
	v_cmp_le_i32_e32 vcc, s16, v7
	s_or_b64 s[14:15], vcc, s[14:15]
	s_waitcnt vmcnt(1)
	global_store_dwordx2 v[2:3], v[8:9], off
	s_waitcnt vmcnt(1)
	global_store_dwordx2 v[4:5], v[10:11], off
	v_add_co_u32_e32 v2, vcc, s10, v2
	v_addc_co_u32_e32 v3, vcc, v3, v1, vcc
	v_add_co_u32_e32 v4, vcc, s12, v4
	v_addc_co_u32_e32 v5, vcc, v5, v6, vcc
	s_andn2_b64 exec, exec, s[14:15]
	s_cbranch_execnz .LBB26_4
.LBB26_5:
	s_or_b64 exec, exec, s[6:7]
	s_mov_b64 s[6:7], 0
.LBB26_6:
	s_andn2_b64 vcc, exec, s[6:7]
	s_cbranch_vccnz .LBB26_10
; %bb.7:
	s_and_saveexec_b64 s[6:7], s[0:1]
	s_cbranch_execz .LBB26_10
; %bb.8:
	s_ashr_i32 s5, s4, 31
	v_ashrrev_i32_e32 v1, 31, v0
	s_lshl_b64 s[0:1], s[4:5], 3
	v_lshlrev_b64 v[2:3], 3, v[0:1]
	s_mov_b64 s[6:7], 0
	v_mov_b32_e32 v1, s9
	v_mov_b32_e32 v4, s3
	;; [unrolled: 1-line block ×3, first 2 shown]
.LBB26_9:                               ; =>This Inner Loop Header: Depth=1
	v_add_co_u32_e32 v6, vcc, s8, v2
	v_addc_co_u32_e32 v7, vcc, v1, v3, vcc
	v_add_co_u32_e32 v8, vcc, s2, v2
	v_addc_co_u32_e32 v9, vcc, v4, v3, vcc
	global_load_dwordx2 v[10:11], v[8:9], off
	global_load_dwordx2 v[12:13], v[6:7], off
	v_add_co_u32_e32 v2, vcc, s0, v2
	v_add_u32_e32 v0, s4, v0
	v_addc_co_u32_e32 v3, vcc, v3, v5, vcc
	v_cmp_le_i32_e32 vcc, s16, v0
	s_or_b64 s[6:7], vcc, s[6:7]
	s_waitcnt vmcnt(1)
	global_store_dwordx2 v[6:7], v[10:11], off
	s_waitcnt vmcnt(1)
	global_store_dwordx2 v[8:9], v[12:13], off
	s_andn2_b64 exec, exec, s[6:7]
	s_cbranch_execnz .LBB26_9
.LBB26_10:
	s_endpgm
	.section	.rodata,"a",@progbits
	.p2align	6, 0x0
	.amdhsa_kernel _ZN9rocsolver6v33100L11swap_kernelI19rocblas_complex_numIfEiEEvT0_PT_S4_S6_S4_
		.amdhsa_group_segment_fixed_size 0
		.amdhsa_private_segment_fixed_size 0
		.amdhsa_kernarg_size 296
		.amdhsa_user_sgpr_count 6
		.amdhsa_user_sgpr_private_segment_buffer 1
		.amdhsa_user_sgpr_dispatch_ptr 0
		.amdhsa_user_sgpr_queue_ptr 0
		.amdhsa_user_sgpr_kernarg_segment_ptr 1
		.amdhsa_user_sgpr_dispatch_id 0
		.amdhsa_user_sgpr_flat_scratch_init 0
		.amdhsa_user_sgpr_kernarg_preload_length 0
		.amdhsa_user_sgpr_kernarg_preload_offset 0
		.amdhsa_user_sgpr_private_segment_size 0
		.amdhsa_uses_dynamic_stack 0
		.amdhsa_system_sgpr_private_segment_wavefront_offset 0
		.amdhsa_system_sgpr_workgroup_id_x 1
		.amdhsa_system_sgpr_workgroup_id_y 0
		.amdhsa_system_sgpr_workgroup_id_z 0
		.amdhsa_system_sgpr_workgroup_info 0
		.amdhsa_system_vgpr_workitem_id 0
		.amdhsa_next_free_vgpr 14
		.amdhsa_next_free_sgpr 17
		.amdhsa_accum_offset 16
		.amdhsa_reserve_vcc 1
		.amdhsa_reserve_flat_scratch 0
		.amdhsa_float_round_mode_32 0
		.amdhsa_float_round_mode_16_64 0
		.amdhsa_float_denorm_mode_32 3
		.amdhsa_float_denorm_mode_16_64 3
		.amdhsa_dx10_clamp 1
		.amdhsa_ieee_mode 1
		.amdhsa_fp16_overflow 0
		.amdhsa_tg_split 0
		.amdhsa_exception_fp_ieee_invalid_op 0
		.amdhsa_exception_fp_denorm_src 0
		.amdhsa_exception_fp_ieee_div_zero 0
		.amdhsa_exception_fp_ieee_overflow 0
		.amdhsa_exception_fp_ieee_underflow 0
		.amdhsa_exception_fp_ieee_inexact 0
		.amdhsa_exception_int_div_zero 0
	.end_amdhsa_kernel
	.section	.text._ZN9rocsolver6v33100L11swap_kernelI19rocblas_complex_numIfEiEEvT0_PT_S4_S6_S4_,"axG",@progbits,_ZN9rocsolver6v33100L11swap_kernelI19rocblas_complex_numIfEiEEvT0_PT_S4_S6_S4_,comdat
.Lfunc_end26:
	.size	_ZN9rocsolver6v33100L11swap_kernelI19rocblas_complex_numIfEiEEvT0_PT_S4_S6_S4_, .Lfunc_end26-_ZN9rocsolver6v33100L11swap_kernelI19rocblas_complex_numIfEiEEvT0_PT_S4_S6_S4_
                                        ; -- End function
	.section	.AMDGPU.csdata,"",@progbits
; Kernel info:
; codeLenInByte = 460
; NumSgprs: 21
; NumVgprs: 14
; NumAgprs: 0
; TotalNumVgprs: 14
; ScratchSize: 0
; MemoryBound: 0
; FloatMode: 240
; IeeeMode: 1
; LDSByteSize: 0 bytes/workgroup (compile time only)
; SGPRBlocks: 2
; VGPRBlocks: 1
; NumSGPRsForWavesPerEU: 21
; NumVGPRsForWavesPerEU: 14
; AccumOffset: 16
; Occupancy: 8
; WaveLimiterHint : 0
; COMPUTE_PGM_RSRC2:SCRATCH_EN: 0
; COMPUTE_PGM_RSRC2:USER_SGPR: 6
; COMPUTE_PGM_RSRC2:TRAP_HANDLER: 0
; COMPUTE_PGM_RSRC2:TGID_X_EN: 1
; COMPUTE_PGM_RSRC2:TGID_Y_EN: 0
; COMPUTE_PGM_RSRC2:TGID_Z_EN: 0
; COMPUTE_PGM_RSRC2:TIDIG_COMP_CNT: 0
; COMPUTE_PGM_RSRC3_GFX90A:ACCUM_OFFSET: 3
; COMPUTE_PGM_RSRC3_GFX90A:TG_SPLIT: 0
	.section	.text._ZN9rocsolver6v33100L10rot_kernelIf19rocblas_complex_numIfEiEEvT1_PT0_S4_S6_S4_T_S7_,"axG",@progbits,_ZN9rocsolver6v33100L10rot_kernelIf19rocblas_complex_numIfEiEEvT1_PT0_S4_S6_S4_T_S7_,comdat
	.globl	_ZN9rocsolver6v33100L10rot_kernelIf19rocblas_complex_numIfEiEEvT1_PT0_S4_S6_S4_T_S7_ ; -- Begin function _ZN9rocsolver6v33100L10rot_kernelIf19rocblas_complex_numIfEiEEvT1_PT0_S4_S6_S4_T_S7_
	.p2align	8
	.type	_ZN9rocsolver6v33100L10rot_kernelIf19rocblas_complex_numIfEiEEvT1_PT0_S4_S6_S4_T_S7_,@function
_ZN9rocsolver6v33100L10rot_kernelIf19rocblas_complex_numIfEiEEvT1_PT0_S4_S6_S4_T_S7_: ; @_ZN9rocsolver6v33100L10rot_kernelIf19rocblas_complex_numIfEiEEvT1_PT0_S4_S6_S4_T_S7_
; %bb.0:
	s_load_dword s22, s[4:5], 0x0
	s_waitcnt lgkmcnt(0)
	s_cmp_lt_i32 s22, 1
	s_cbranch_scc1 .LBB27_10
; %bb.1:
	s_load_dword s0, s[4:5], 0x3c
	s_load_dwordx4 s[8:11], s[4:5], 0x20
	s_load_dword s1, s[4:5], 0x30
	s_load_dwordx2 s[2:3], s[4:5], 0x8
	s_load_dword s18, s[4:5], 0x10
	s_load_dwordx2 s[12:13], s[4:5], 0x18
	s_waitcnt lgkmcnt(0)
	s_and_b32 s0, s0, 0xffff
	s_mul_i32 s6, s6, s0
	s_mul_i32 s4, s1, s0
	s_cmp_eq_u32 s18, 1
	s_cselect_b64 s[0:1], -1, 0
	s_cmp_eq_u32 s8, 1
	v_add_u32_e32 v0, s6, v0
	s_cselect_b64 s[6:7], -1, 0
	s_and_b64 s[14:15], s[0:1], s[6:7]
	v_cmp_gt_i32_e64 s[0:1], s22, v0
	s_mov_b64 s[6:7], -1
	s_and_b64 vcc, exec, s[14:15]
	s_cbranch_vccnz .LBB27_6
; %bb.2:
	s_and_saveexec_b64 s[6:7], s[0:1]
	s_cbranch_execz .LBB27_5
; %bb.3:
	v_mad_i64_i32 v[2:3], s[16:17], s8, v0, 0
	v_lshlrev_b64 v[2:3], 3, v[2:3]
	v_mov_b32_e32 v1, s13
	v_add_co_u32_e32 v2, vcc, s12, v2
	v_mad_i64_i32 v[4:5], s[20:21], s18, v0, 0
	v_addc_co_u32_e32 v3, vcc, v1, v3, vcc
	v_lshlrev_b64 v[4:5], 3, v[4:5]
	v_mov_b32_e32 v1, s3
	v_add_co_u32_e32 v4, vcc, s2, v4
	s_mul_hi_i32 s17, s8, s4
	s_mul_i32 s16, s8, s4
	v_addc_co_u32_e32 v1, vcc, v5, v1, vcc
	s_mul_hi_i32 s19, s18, s4
	s_mul_i32 s18, s18, s4
	s_lshl_b64 s[16:17], s[16:17], 3
	v_add_co_u32_e32 v4, vcc, 4, v4
	s_lshl_b64 s[18:19], s[18:19], 3
	s_mov_b32 s14, s9
	s_mov_b32 s15, s9
	;; [unrolled: 1-line block ×3, first 2 shown]
	v_addc_co_u32_e32 v5, vcc, 0, v1, vcc
	s_mov_b64 s[20:21], 0
	v_mov_b32_e32 v1, s17
	v_mov_b32_e32 v6, s19
	;; [unrolled: 1-line block ×3, first 2 shown]
.LBB27_4:                               ; =>This Inner Loop Header: Depth=1
	global_load_dwordx2 v[8:9], v[2:3], off
	global_load_dwordx2 v[10:11], v[4:5], off offset:-4
	v_add_u32_e32 v7, s4, v7
	v_cmp_le_i32_e32 vcc, s22, v7
	s_or_b64 s[20:21], vcc, s[20:21]
	s_waitcnt vmcnt(1)
	v_mul_f32_e32 v12, s10, v8
	s_waitcnt vmcnt(0)
	v_pk_mul_f32 v[14:15], v[10:11], s[10:11]
	v_mul_f32_e32 v13, s10, v9
	v_pk_fma_f32 v[8:9], v[8:9], s[14:15], v[14:15] neg_lo:[0,0,1] neg_hi:[0,0,1]
	v_fmac_f32_e32 v12, s9, v10
	v_fmac_f32_e32 v13, s9, v11
	global_store_dwordx2 v[2:3], v[8:9], off
	global_store_dwordx2 v[4:5], v[12:13], off offset:-4
	v_add_co_u32_e32 v2, vcc, s16, v2
	v_addc_co_u32_e32 v3, vcc, v3, v1, vcc
	v_add_co_u32_e32 v4, vcc, s18, v4
	v_addc_co_u32_e32 v5, vcc, v5, v6, vcc
	s_andn2_b64 exec, exec, s[20:21]
	s_cbranch_execnz .LBB27_4
.LBB27_5:
	s_or_b64 exec, exec, s[6:7]
	s_mov_b64 s[6:7], 0
.LBB27_6:
	s_andn2_b64 vcc, exec, s[6:7]
	s_cbranch_vccnz .LBB27_10
; %bb.7:
	s_and_saveexec_b64 s[6:7], s[0:1]
	s_cbranch_execz .LBB27_10
; %bb.8:
	s_ashr_i32 s5, s4, 31
	v_ashrrev_i32_e32 v1, 31, v0
	s_lshl_b64 s[0:1], s[4:5], 3
	s_mov_b32 s8, s9
	s_mov_b32 s11, s10
	v_lshlrev_b64 v[2:3], 3, v[0:1]
	s_mov_b64 s[6:7], 0
	v_mov_b32_e32 v1, s3
	v_mov_b32_e32 v4, s13
	;; [unrolled: 1-line block ×3, first 2 shown]
.LBB27_9:                               ; =>This Inner Loop Header: Depth=1
	v_add_co_u32_e32 v6, vcc, s2, v2
	v_addc_co_u32_e32 v7, vcc, v1, v3, vcc
	v_add_co_u32_e32 v8, vcc, s12, v2
	v_addc_co_u32_e32 v9, vcc, v4, v3, vcc
	global_load_dwordx2 v[10:11], v[8:9], off
	global_load_dwordx2 v[12:13], v[6:7], off
	v_add_co_u32_e32 v2, vcc, s0, v2
	v_add_u32_e32 v0, s4, v0
	v_addc_co_u32_e32 v3, vcc, v3, v5, vcc
	v_cmp_le_i32_e32 vcc, s22, v0
	s_or_b64 s[6:7], vcc, s[6:7]
	s_waitcnt vmcnt(1)
	v_mul_f32_e32 v14, s10, v10
	s_waitcnt vmcnt(0)
	v_pk_mul_f32 v[16:17], v[12:13], s[10:11]
	v_mul_f32_e32 v15, s10, v11
	v_pk_fma_f32 v[10:11], v[10:11], s[8:9], v[16:17] neg_lo:[0,0,1] neg_hi:[0,0,1]
	v_fmac_f32_e32 v14, s9, v12
	v_fmac_f32_e32 v15, s9, v13
	global_store_dwordx2 v[8:9], v[10:11], off
	global_store_dwordx2 v[6:7], v[14:15], off
	s_andn2_b64 exec, exec, s[6:7]
	s_cbranch_execnz .LBB27_9
.LBB27_10:
	s_endpgm
	.section	.rodata,"a",@progbits
	.p2align	6, 0x0
	.amdhsa_kernel _ZN9rocsolver6v33100L10rot_kernelIf19rocblas_complex_numIfEiEEvT1_PT0_S4_S6_S4_T_S7_
		.amdhsa_group_segment_fixed_size 0
		.amdhsa_private_segment_fixed_size 0
		.amdhsa_kernarg_size 304
		.amdhsa_user_sgpr_count 6
		.amdhsa_user_sgpr_private_segment_buffer 1
		.amdhsa_user_sgpr_dispatch_ptr 0
		.amdhsa_user_sgpr_queue_ptr 0
		.amdhsa_user_sgpr_kernarg_segment_ptr 1
		.amdhsa_user_sgpr_dispatch_id 0
		.amdhsa_user_sgpr_flat_scratch_init 0
		.amdhsa_user_sgpr_kernarg_preload_length 0
		.amdhsa_user_sgpr_kernarg_preload_offset 0
		.amdhsa_user_sgpr_private_segment_size 0
		.amdhsa_uses_dynamic_stack 0
		.amdhsa_system_sgpr_private_segment_wavefront_offset 0
		.amdhsa_system_sgpr_workgroup_id_x 1
		.amdhsa_system_sgpr_workgroup_id_y 0
		.amdhsa_system_sgpr_workgroup_id_z 0
		.amdhsa_system_sgpr_workgroup_info 0
		.amdhsa_system_vgpr_workitem_id 0
		.amdhsa_next_free_vgpr 18
		.amdhsa_next_free_sgpr 23
		.amdhsa_accum_offset 20
		.amdhsa_reserve_vcc 1
		.amdhsa_reserve_flat_scratch 0
		.amdhsa_float_round_mode_32 0
		.amdhsa_float_round_mode_16_64 0
		.amdhsa_float_denorm_mode_32 3
		.amdhsa_float_denorm_mode_16_64 3
		.amdhsa_dx10_clamp 1
		.amdhsa_ieee_mode 1
		.amdhsa_fp16_overflow 0
		.amdhsa_tg_split 0
		.amdhsa_exception_fp_ieee_invalid_op 0
		.amdhsa_exception_fp_denorm_src 0
		.amdhsa_exception_fp_ieee_div_zero 0
		.amdhsa_exception_fp_ieee_overflow 0
		.amdhsa_exception_fp_ieee_underflow 0
		.amdhsa_exception_fp_ieee_inexact 0
		.amdhsa_exception_int_div_zero 0
	.end_amdhsa_kernel
	.section	.text._ZN9rocsolver6v33100L10rot_kernelIf19rocblas_complex_numIfEiEEvT1_PT0_S4_S6_S4_T_S7_,"axG",@progbits,_ZN9rocsolver6v33100L10rot_kernelIf19rocblas_complex_numIfEiEEvT1_PT0_S4_S6_S4_T_S7_,comdat
.Lfunc_end27:
	.size	_ZN9rocsolver6v33100L10rot_kernelIf19rocblas_complex_numIfEiEEvT1_PT0_S4_S6_S4_T_S7_, .Lfunc_end27-_ZN9rocsolver6v33100L10rot_kernelIf19rocblas_complex_numIfEiEEvT1_PT0_S4_S6_S4_T_S7_
                                        ; -- End function
	.section	.AMDGPU.csdata,"",@progbits
; Kernel info:
; codeLenInByte = 552
; NumSgprs: 27
; NumVgprs: 18
; NumAgprs: 0
; TotalNumVgprs: 18
; ScratchSize: 0
; MemoryBound: 0
; FloatMode: 240
; IeeeMode: 1
; LDSByteSize: 0 bytes/workgroup (compile time only)
; SGPRBlocks: 3
; VGPRBlocks: 2
; NumSGPRsForWavesPerEU: 27
; NumVGPRsForWavesPerEU: 18
; AccumOffset: 20
; Occupancy: 8
; WaveLimiterHint : 0
; COMPUTE_PGM_RSRC2:SCRATCH_EN: 0
; COMPUTE_PGM_RSRC2:USER_SGPR: 6
; COMPUTE_PGM_RSRC2:TRAP_HANDLER: 0
; COMPUTE_PGM_RSRC2:TGID_X_EN: 1
; COMPUTE_PGM_RSRC2:TGID_Y_EN: 0
; COMPUTE_PGM_RSRC2:TGID_Z_EN: 0
; COMPUTE_PGM_RSRC2:TIDIG_COMP_CNT: 0
; COMPUTE_PGM_RSRC3_GFX90A:ACCUM_OFFSET: 4
; COMPUTE_PGM_RSRC3_GFX90A:TG_SPLIT: 0
	.section	.text._ZN9rocsolver6v33100L11lasr_kernelI19rocblas_complex_numIfEfPS3_iEEv13rocblas_side_14rocblas_pivot_15rocblas_direct_T2_S8_PT0_lSA_lT1_lS8_lS8_,"axG",@progbits,_ZN9rocsolver6v33100L11lasr_kernelI19rocblas_complex_numIfEfPS3_iEEv13rocblas_side_14rocblas_pivot_15rocblas_direct_T2_S8_PT0_lSA_lT1_lS8_lS8_,comdat
	.globl	_ZN9rocsolver6v33100L11lasr_kernelI19rocblas_complex_numIfEfPS3_iEEv13rocblas_side_14rocblas_pivot_15rocblas_direct_T2_S8_PT0_lSA_lT1_lS8_lS8_ ; -- Begin function _ZN9rocsolver6v33100L11lasr_kernelI19rocblas_complex_numIfEfPS3_iEEv13rocblas_side_14rocblas_pivot_15rocblas_direct_T2_S8_PT0_lSA_lT1_lS8_lS8_
	.p2align	8
	.type	_ZN9rocsolver6v33100L11lasr_kernelI19rocblas_complex_numIfEfPS3_iEEv13rocblas_side_14rocblas_pivot_15rocblas_direct_T2_S8_PT0_lSA_lT1_lS8_lS8_,@function
_ZN9rocsolver6v33100L11lasr_kernelI19rocblas_complex_numIfEfPS3_iEEv13rocblas_side_14rocblas_pivot_15rocblas_direct_T2_S8_PT0_lSA_lT1_lS8_lS8_: ; @_ZN9rocsolver6v33100L11lasr_kernelI19rocblas_complex_numIfEfPS3_iEEv13rocblas_side_14rocblas_pivot_15rocblas_direct_T2_S8_PT0_lSA_lT1_lS8_lS8_
; %bb.0:
	s_load_dword s33, s[4:5], 0x58
	s_waitcnt lgkmcnt(0)
	s_cmp_ge_u32 s7, s33
	s_cbranch_scc1 .LBB28_98
; %bb.1:
	s_load_dwordx4 s[0:3], s[4:5], 0x38
	s_load_dword s20, s[4:5], 0x48
	s_load_dwordx2 s[22:23], s[4:5], 0x50
	s_load_dword s26, s[4:5], 0x60
	s_load_dwordx2 s[24:25], s[4:5], 0x68
	s_load_dwordx4 s[16:19], s[4:5], 0x0
	s_load_dword s86, s[4:5], 0x10
	s_load_dwordx8 s[8:15], s[4:5], 0x18
	s_waitcnt lgkmcnt(0)
	s_ashr_i32 s21, s20, 31
	s_and_b32 s5, s25, 0xffff
	s_mul_i32 s6, s6, s5
	s_lshl_b64 s[2:3], s[2:3], 3
	v_add_u32_e32 v0, s6, v0
	s_add_u32 s6, s0, s2
	s_addc_u32 s25, s1, s3
	s_cmpk_lg_i32 s16, 0x8d
	s_cselect_b64 s[38:39], -1, 0
	s_cmpk_lg_i32 s16, 0x8e
	s_cselect_b64 s[44:45], -1, 0
	;; [unrolled: 2-line block ×6, first 2 shown]
	s_or_b64 s[28:29], s[38:39], s[42:43]
	s_or_b64 s[16:17], s[28:29], s[52:53]
	s_xor_b64 s[16:17], s[16:17], -1
	s_ashr_i32 s27, s19, 31
	s_add_i32 s62, s19, -2
	s_cmpk_lg_i32 s18, 0xac
	s_cselect_b64 s[54:55], -1, 0
	s_or_b64 s[28:29], s[28:29], s[54:55]
	s_xor_b64 s[28:29], s[28:29], -1
	s_cmp_gt_i32 s19, 1
	s_cselect_b64 s[30:31], -1, 0
	s_or_b64 s[36:37], s[38:39], s[50:51]
	s_or_b64 s[40:41], s[38:39], s[48:49]
	s_or_b64 s[46:47], s[44:45], s[42:43]
	s_or_b64 s[34:35], s[36:37], s[52:53]
	s_or_b64 s[36:37], s[36:37], s[54:55]
	s_or_b64 s[38:39], s[40:41], s[52:53]
	s_or_b64 s[40:41], s[40:41], s[54:55]
	s_or_b64 s[42:43], s[46:47], s[52:53]
	s_or_b64 s[46:47], s[46:47], s[54:55]
	s_xor_b64 s[34:35], s[34:35], -1
	s_xor_b64 s[36:37], s[36:37], -1
	;; [unrolled: 1-line block ×5, first 2 shown]
	s_add_i32 s18, s86, -1
	s_xor_b64 s[46:47], s[46:47], -1
                                        ; implicit-def: $vgpr48 : SGPR spill to VGPR lane
	s_add_i32 s68, s86, -2
	v_writelane_b32 v48, s46, 0
	s_cmp_gt_i32 s86, 1
	v_writelane_b32 v48, s47, 1
	s_cselect_b64 s[46:47], -1, 0
	s_or_b64 s[50:51], s[44:45], s[50:51]
	s_or_b64 s[56:57], s[50:51], s[52:53]
	s_xor_b64 s[56:57], s[56:57], -1
	v_writelane_b32 v48, s56, 2
	s_or_b64 s[50:51], s[50:51], s[54:55]
	v_writelane_b32 v48, s57, 3
	s_xor_b64 s[50:51], s[50:51], -1
	s_or_b64 s[44:45], s[44:45], s[48:49]
	v_writelane_b32 v48, s50, 4
	s_or_b64 s[48:49], s[44:45], s[52:53]
	v_writelane_b32 v48, s51, 5
	s_xor_b64 s[48:49], s[48:49], -1
	v_writelane_b32 v48, s48, 6
	v_cmp_le_i32_e32 vcc, s19, v0
	v_writelane_b32 v48, s49, 7
	s_or_b64 s[48:49], s[54:55], vcc
	s_or_b64 s[44:45], s[44:45], s[48:49]
	s_xor_b64 s[44:45], s[44:45], -1
	s_mul_i32 s4, s26, s5
	v_writelane_b32 v48, s44, 8
	v_writelane_b32 v48, s45, 9
	s_mul_hi_i32 s45, s20, s4
	s_mul_i32 s44, s20, s4
	s_mov_b32 s63, 0
	s_add_i32 s56, s19, -1
	s_lshl_b64 s[14:15], s[14:15], 2
	s_lshl_b64 s[58:59], s[22:23], 3
	s_ashr_i32 s5, s4, 31
	s_lshl_b64 s[60:61], s[44:45], 3
	s_lshl_b64 s[10:11], s[10:11], 2
	;; [unrolled: 1-line block ×3, first 2 shown]
	s_add_u32 s87, s8, s44
	s_addc_u32 s88, s9, s45
	s_add_u32 s89, s12, s44
	s_mul_i32 s26, s21, s68
	s_mul_hi_u32 s48, s20, s68
	s_addc_u32 s90, s13, s45
	s_mov_b32 s57, s63
	s_add_i32 s49, s48, s26
	s_mul_i32 s48, s20, s68
	s_mov_b32 s69, s63
	s_lshl_b64 s[44:45], s[62:63], 3
	s_lshl_b64 s[48:49], s[48:49], 3
	s_add_i32 s91, s19, 1
	s_lshl_b64 s[50:51], s[56:57], 3
	s_lshl_b64 s[62:63], s[20:21], 3
	;; [unrolled: 1-line block ×3, first 2 shown]
	s_add_u32 s5, s48, s2
	s_addc_u32 s26, s49, s3
	s_add_u32 s52, s0, s5
	s_mul_i32 s5, s21, s18
	s_mul_hi_u32 s21, s20, s18
	s_mul_i32 s66, s20, s18
	s_addc_u32 s26, s1, s26
	s_add_i32 s49, s21, s5
	s_mov_b32 s48, s66
	s_lshl_b64 s[48:49], s[48:49], 3
	s_add_u32 s5, s48, s2
	s_addc_u32 s21, s49, s3
	s_add_u32 s53, s0, s5
	s_addc_u32 s54, s1, s21
	s_lshl_b64 s[48:49], s[68:69], 2
	s_add_u32 s5, s8, s48
	s_addc_u32 s21, s9, s49
	s_add_u32 s57, s12, s48
	s_addc_u32 s92, s13, s49
	;; [unrolled: 2-line block ×4, first 2 shown]
	v_mad_i64_i32 v[2:3], s[0:1], s20, v0, 0
	v_lshlrev_b64 v[2:3], 3, v[2:3]
	v_mov_b32_e32 v1, s25
	v_add_co_u32_e32 v4, vcc, s6, v2
	v_addc_co_u32_e32 v1, vcc, v1, v3, vcc
	v_add_co_u32_e32 v2, vcc, 8, v4
	v_addc_co_u32_e32 v3, vcc, 0, v1, vcc
	v_mov_b32_e32 v5, s45
	v_add_co_u32_e32 v16, vcc, s44, v4
	v_addc_co_u32_e32 v17, vcc, v1, v5, vcc
	v_add_co_u32_e32 v18, vcc, 4, v4
	v_addc_co_u32_e32 v19, vcc, 0, v1, vcc
	v_mov_b32_e32 v1, s51
	v_add_co_u32_e32 v20, vcc, s50, v18
	v_addc_co_u32_e32 v21, vcc, v19, v1, vcc
	v_add_co_u32_e32 v22, vcc, 4, v16
	v_ashrrev_i32_e32 v1, 31, v0
	v_addc_co_u32_e32 v23, vcc, 0, v17, vcc
	v_lshlrev_b64 v[4:5], 3, v[0:1]
	v_mov_b32_e32 v1, s25
	v_add_co_u32_e32 v24, vcc, s6, v4
	v_addc_co_u32_e32 v25, vcc, v1, v5, vcc
	v_mov_b32_e32 v1, s26
	v_add_co_u32_e32 v26, vcc, s52, v4
	v_addc_co_u32_e32 v27, vcc, v1, v5, vcc
	;; [unrolled: 3-line block ×3, first 2 shown]
	v_add_co_u32_e32 v28, vcc, 4, v6
	v_addc_co_u32_e32 v29, vcc, 0, v1, vcc
	v_mov_b32_e32 v1, s3
	v_add_co_u32_e32 v4, vcc, s2, v4
	v_addc_co_u32_e32 v1, vcc, v1, v5, vcc
	v_add_co_u32_e32 v30, vcc, 4, v4
	v_addc_co_u32_e32 v31, vcc, 0, v1, vcc
	;; [unrolled: 2-line block ×3, first 2 shown]
	s_add_i32 s93, s86, 1
	v_add_co_u32_e32 v34, vcc, 4, v26
	s_sub_u32 s94, 0, s62
	v_addc_co_u32_e32 v35, vcc, 0, v27, vcc
	s_mov_b32 s26, s19
	s_mul_hi_i32 s67, s20, s18
	v_mov_b32_e32 v36, 0
	s_subb_u32 s95, 0, s63
	v_cmp_gt_i32_e64 s[0:1], s86, v0
	v_cmp_gt_i32_e64 s[2:3], s19, v0
	s_branch .LBB28_4
.LBB28_2:                               ;   in Loop: Header=BB28_4 Depth=1
	s_or_b64 exec, exec, s[68:69]
.LBB28_3:                               ;   in Loop: Header=BB28_4 Depth=1
	s_add_i32 s7, s7, s24
	s_cmp_ge_u32 s7, s33
	s_cbranch_scc1 .LBB28_98
.LBB28_4:                               ; =>This Loop Header: Depth=1
                                        ;     Child Loop BB28_8 Depth 2
                                        ;       Child Loop BB28_9 Depth 3
                                        ;     Child Loop BB28_16 Depth 2
                                        ;       Child Loop BB28_17 Depth 3
	;; [unrolled: 2-line block ×12, first 2 shown]
	s_mul_i32 s44, s11, s7
	s_mul_hi_u32 s45, s10, s7
	s_add_i32 s84, s45, s44
	s_mul_i32 s44, s15, s7
	s_mul_hi_u32 s45, s14, s7
	s_mul_i32 s85, s10, s7
	s_add_i32 s50, s45, s44
	s_add_u32 s68, s8, s85
	v_mov_b32_e32 v1, s7
	s_mul_i32 s51, s14, s7
	s_addc_u32 s69, s9, s84
	v_mad_u64_u32 v[4:5], s[44:45], s58, v1, v[2:3]
	s_add_u32 s70, s12, s51
	s_mul_i32 s44, s7, s23
	s_mul_hi_u32 s45, s7, s22
	s_addc_u32 s71, s13, s50
	s_add_i32 s45, s45, s44
	s_mul_i32 s44, s7, s22
	s_lshl_b64 s[44:45], s[44:45], 3
	s_mul_i32 s52, s59, s7
	s_add_u32 s54, s6, s44
	v_add_u32_e32 v5, s52, v5
	s_addc_u32 s55, s25, s45
	s_andn2_b64 vcc, exec, s[16:17]
	s_mov_b64 s[72:73], -1
	s_cbranch_vccnz .LBB28_11
; %bb.5:                                ;   in Loop: Header=BB28_4 Depth=1
	s_and_saveexec_b64 s[72:73], s[0:1]
	s_cbranch_execz .LBB28_10
; %bb.6:                                ;   in Loop: Header=BB28_4 Depth=1
	s_lshl_b64 s[44:45], s[26:27], 3
	s_add_u32 s44, s54, s44
	s_addc_u32 s45, s55, s45
	s_add_u32 s53, s44, -8
	s_addc_u32 s48, s45, -1
	s_mov_b64 s[74:75], 0
	v_mov_b32_e32 v1, s55
	v_pk_mov_b32 v[6:7], v[4:5], v[4:5] op_sel:[0,1]
	v_mov_b32_e32 v14, v0
	s_branch .LBB28_8
.LBB28_7:                               ;   in Loop: Header=BB28_8 Depth=2
	v_mov_b32_e32 v12, s48
	v_add_co_u32_e32 v8, vcc, s53, v8
	v_addc_co_u32_e32 v9, vcc, v12, v9, vcc
	v_add_u32_e32 v14, s4, v14
	v_cmp_le_i32_e32 vcc, s86, v14
	s_waitcnt vmcnt(0)
	global_store_dwordx2 v[8:9], v[10:11], off
	v_mov_b32_e32 v8, s61
	s_or_b64 s[74:75], vcc, s[74:75]
	v_add_co_u32_e32 v6, vcc, s60, v6
	v_addc_co_u32_e32 v7, vcc, v7, v8, vcc
	s_andn2_b64 exec, exec, s[74:75]
	s_cbranch_execz .LBB28_10
.LBB28_8:                               ;   Parent Loop BB28_4 Depth=1
                                        ; =>  This Loop Header: Depth=2
                                        ;       Child Loop BB28_9 Depth 3
	v_mad_i64_i32 v[8:9], s[44:45], v14, s20, 0
	v_lshlrev_b64 v[8:9], 3, v[8:9]
	v_add_co_u32_e32 v10, vcc, s54, v8
	v_addc_co_u32_e32 v11, vcc, v1, v9, vcc
	global_load_dwordx2 v[10:11], v[10:11], off
	s_andn2_b64 vcc, exec, s[30:31]
	s_mov_b64 s[76:77], s[68:69]
	v_pk_mov_b32 v[12:13], v[6:7], v[6:7] op_sel:[0,1]
	s_mov_b64 s[78:79], s[70:71]
	s_mov_b32 s44, s56
	s_cbranch_vccnz .LBB28_7
.LBB28_9:                               ;   Parent Loop BB28_4 Depth=1
                                        ;     Parent Loop BB28_8 Depth=2
                                        ; =>    This Inner Loop Header: Depth=3
	global_load_dword v38, v36, s[78:79]
	global_load_dwordx2 v[40:41], v[12:13], off
	global_load_dword v42, v36, s[76:77]
	s_add_i32 s44, s44, -1
	s_add_u32 s78, s78, 4
	s_addc_u32 s79, s79, 0
	s_add_u32 s76, s76, 4
	s_addc_u32 s77, s77, 0
	s_cmp_eq_u32 s44, 0
	s_waitcnt vmcnt(1)
	v_mul_f32_e32 v44, v38, v40
	v_mul_f32_e32 v45, v38, v41
	s_waitcnt vmcnt(0)
	v_fmac_f32_e32 v44, v10, v42
	v_fmac_f32_e32 v45, v11, v42
	v_pk_mul_f32 v[38:39], v[10:11], v[38:39] op_sel_hi:[1,0]
	global_store_dwordx2 v[12:13], v[44:45], off offset:-8
	v_add_co_u32_e32 v12, vcc, 8, v12
	v_pk_fma_f32 v[10:11], v[42:43], v[40:41], v[38:39] op_sel_hi:[0,1,1] neg_lo:[0,0,1] neg_hi:[0,0,1]
	v_addc_co_u32_e32 v13, vcc, 0, v13, vcc
	s_cbranch_scc0 .LBB28_9
	s_branch .LBB28_7
.LBB28_10:                              ;   in Loop: Header=BB28_4 Depth=1
	s_or_b64 exec, exec, s[72:73]
	s_mov_b64 s[72:73], 0
.LBB28_11:                              ;   in Loop: Header=BB28_4 Depth=1
	s_andn2_b64 vcc, exec, s[72:73]
	s_cbranch_vccnz .LBB28_3
; %bb.12:                               ;   in Loop: Header=BB28_4 Depth=1
	s_mul_hi_u32 s44, s58, s7
	s_add_i32 s52, s44, s52
	s_add_u32 s72, s87, s85
	s_addc_u32 s73, s88, s84
	s_add_u32 s74, s89, s51
	s_mul_i32 s53, s58, s7
	s_addc_u32 s75, s90, s50
	s_andn2_b64 vcc, exec, s[28:29]
	s_mov_b64 s[76:77], -1
	s_cbranch_vccnz .LBB28_19
; %bb.13:                               ;   in Loop: Header=BB28_4 Depth=1
	s_and_saveexec_b64 s[76:77], s[0:1]
	s_cbranch_execz .LBB28_18
; %bb.14:                               ;   in Loop: Header=BB28_4 Depth=1
	s_lshl_b64 s[44:45], s[26:27], 3
	s_add_u32 s44, s54, s44
	s_addc_u32 s45, s55, s45
	v_mov_b32_e32 v1, s52
	v_add_co_u32_e32 v6, vcc, s53, v16
	s_add_u32 s48, s44, -8
	v_addc_co_u32_e32 v7, vcc, v17, v1, vcc
	s_addc_u32 s49, s45, -1
	s_mov_b64 s[78:79], 0
	v_mov_b32_e32 v1, v0
	s_branch .LBB28_16
.LBB28_15:                              ;   in Loop: Header=BB28_16 Depth=2
	v_mov_b32_e32 v12, s55
	v_add_co_u32_e32 v8, vcc, s54, v8
	v_addc_co_u32_e32 v9, vcc, v12, v9, vcc
	v_add_u32_e32 v1, s4, v1
	v_cmp_le_i32_e32 vcc, s86, v1
	s_waitcnt vmcnt(0)
	global_store_dwordx2 v[8:9], v[10:11], off
	v_mov_b32_e32 v8, s61
	s_or_b64 s[78:79], vcc, s[78:79]
	v_add_co_u32_e32 v6, vcc, s60, v6
	v_addc_co_u32_e32 v7, vcc, v7, v8, vcc
	s_andn2_b64 exec, exec, s[78:79]
	s_cbranch_execz .LBB28_18
.LBB28_16:                              ;   Parent Loop BB28_4 Depth=1
                                        ; =>  This Loop Header: Depth=2
                                        ;       Child Loop BB28_17 Depth 3
	v_mad_i64_i32 v[8:9], s[44:45], v1, s20, 0
	v_lshlrev_b64 v[8:9], 3, v[8:9]
	v_mov_b32_e32 v11, s49
	v_add_co_u32_e32 v10, vcc, s48, v8
	v_addc_co_u32_e32 v11, vcc, v11, v9, vcc
	global_load_dwordx2 v[10:11], v[10:11], off
	s_andn2_b64 vcc, exec, s[30:31]
	v_pk_mov_b32 v[12:13], v[6:7], v[6:7] op_sel:[0,1]
	s_mov_b64 s[80:81], s[74:75]
	s_mov_b64 s[82:83], s[72:73]
	s_mov_b32 s44, s56
	s_cbranch_vccnz .LBB28_15
.LBB28_17:                              ;   Parent Loop BB28_4 Depth=1
                                        ;     Parent Loop BB28_16 Depth=2
                                        ; =>    This Inner Loop Header: Depth=3
	global_load_dwordx2 v[14:15], v[12:13], off
	global_load_dword v38, v36, s[80:81]
	global_load_dword v40, v36, s[82:83]
	s_add_i32 s44, s44, -1
	s_add_u32 s82, s82, -4
	s_addc_u32 s83, s83, -1
	s_add_u32 s80, s80, -4
	s_addc_u32 s81, s81, -1
	s_cmp_eq_u32 s44, 0
	s_waitcnt vmcnt(1)
	v_mul_f32_e32 v37, v38, v14
	v_mul_f32_e32 v39, v38, v15
	s_waitcnt vmcnt(0)
	v_fma_f32 v42, v10, v40, -v37
	v_fma_f32 v43, v11, v40, -v39
	v_pk_mul_f32 v[14:15], v[40:41], v[14:15] op_sel_hi:[0,1]
	global_store_dwordx2 v[12:13], v[42:43], off offset:8
	v_add_co_u32_e32 v12, vcc, -8, v12
	v_pk_fma_f32 v[10:11], v[10:11], v[38:39], v[14:15] op_sel_hi:[1,0,1]
	v_addc_co_u32_e32 v13, vcc, -1, v13, vcc
	s_cbranch_scc0 .LBB28_17
	s_branch .LBB28_15
.LBB28_18:                              ;   in Loop: Header=BB28_4 Depth=1
	s_or_b64 exec, exec, s[76:77]
	s_mov_b64 s[76:77], 0
.LBB28_19:                              ;   in Loop: Header=BB28_4 Depth=1
	s_andn2_b64 vcc, exec, s[76:77]
	s_cbranch_vccnz .LBB28_3
; %bb.20:                               ;   in Loop: Header=BB28_4 Depth=1
	s_andn2_b64 vcc, exec, s[34:35]
	s_mov_b64 s[76:77], -1
	s_cbranch_vccnz .LBB28_27
; %bb.21:                               ;   in Loop: Header=BB28_4 Depth=1
	s_and_saveexec_b64 s[76:77], s[0:1]
	s_cbranch_execz .LBB28_26
; %bb.22:                               ;   in Loop: Header=BB28_4 Depth=1
	s_mov_b64 s[78:79], 0
	v_mov_b32_e32 v1, v0
	s_branch .LBB28_24
.LBB28_23:                              ;   in Loop: Header=BB28_24 Depth=2
	v_add_u32_e32 v1, s4, v1
	v_cmp_le_i32_e32 vcc, s86, v1
	s_waitcnt vmcnt(0)
	global_store_dwordx2 v[6:7], v[8:9], off
	v_mov_b32_e32 v6, s61
	s_or_b64 s[78:79], vcc, s[78:79]
	v_add_co_u32_e32 v4, vcc, s60, v4
	v_addc_co_u32_e32 v5, vcc, v5, v6, vcc
	s_andn2_b64 exec, exec, s[78:79]
	s_cbranch_execz .LBB28_26
.LBB28_24:                              ;   Parent Loop BB28_4 Depth=1
                                        ; =>  This Loop Header: Depth=2
                                        ;       Child Loop BB28_25 Depth 3
	v_mad_i64_i32 v[6:7], s[44:45], v1, s20, 0
	v_lshlrev_b64 v[6:7], 3, v[6:7]
	v_mov_b32_e32 v8, s55
	v_add_co_u32_e32 v6, vcc, s54, v6
	v_addc_co_u32_e32 v7, vcc, v8, v7, vcc
	global_load_dwordx2 v[8:9], v[6:7], off
	s_andn2_b64 vcc, exec, s[30:31]
	v_pk_mov_b32 v[10:11], v[4:5], v[4:5] op_sel:[0,1]
	s_mov_b32 s44, s56
	s_mov_b64 s[80:81], s[68:69]
	s_mov_b64 s[82:83], s[70:71]
	s_cbranch_vccnz .LBB28_23
.LBB28_25:                              ;   Parent Loop BB28_4 Depth=1
                                        ;     Parent Loop BB28_24 Depth=2
                                        ; =>    This Inner Loop Header: Depth=3
	global_load_dword v12, v36, s[82:83]
	global_load_dwordx2 v[14:15], v[10:11], off
	global_load_dword v38, v36, s[80:81]
	s_add_u32 s82, s82, 4
	s_addc_u32 s83, s83, 0
	s_add_u32 s80, s80, 4
	s_addc_u32 s81, s81, 0
	s_add_i32 s44, s44, -1
	s_cmp_eq_u32 s44, 0
	s_waitcnt vmcnt(2)
	v_mul_f32_e32 v37, v8, v12
	v_mul_f32_e32 v39, v9, v12
	s_waitcnt vmcnt(1)
	v_pk_mul_f32 v[12:13], v[12:13], v[14:15] op_sel_hi:[0,1]
	s_waitcnt vmcnt(0)
	v_fma_f32 v14, v38, v14, -v37
	v_fma_f32 v15, v38, v15, -v39
	global_store_dwordx2 v[10:11], v[14:15], off
	v_add_co_u32_e32 v10, vcc, 8, v10
	v_pk_fma_f32 v[8:9], v[8:9], v[38:39], v[12:13] op_sel_hi:[1,0,1]
	v_addc_co_u32_e32 v11, vcc, 0, v11, vcc
	s_cbranch_scc0 .LBB28_25
	s_branch .LBB28_23
.LBB28_26:                              ;   in Loop: Header=BB28_4 Depth=1
	s_or_b64 exec, exec, s[76:77]
	s_mov_b64 s[76:77], 0
.LBB28_27:                              ;   in Loop: Header=BB28_4 Depth=1
	s_andn2_b64 vcc, exec, s[76:77]
	s_cbranch_vccnz .LBB28_3
; %bb.28:                               ;   in Loop: Header=BB28_4 Depth=1
	s_andn2_b64 vcc, exec, s[36:37]
	s_mov_b64 s[76:77], -1
	s_cbranch_vccnz .LBB28_35
; %bb.29:                               ;   in Loop: Header=BB28_4 Depth=1
	s_and_saveexec_b64 s[76:77], s[0:1]
	s_cbranch_execz .LBB28_34
; %bb.30:                               ;   in Loop: Header=BB28_4 Depth=1
	v_mov_b32_e32 v1, s52
	v_add_co_u32_e32 v4, vcc, s53, v20
	v_addc_co_u32_e32 v5, vcc, v21, v1, vcc
	s_mov_b64 s[78:79], 0
	v_mov_b32_e32 v1, v0
	s_branch .LBB28_32
.LBB28_31:                              ;   in Loop: Header=BB28_32 Depth=2
	v_add_u32_e32 v1, s4, v1
	v_cmp_le_i32_e32 vcc, s86, v1
	s_waitcnt vmcnt(0)
	global_store_dwordx2 v[6:7], v[8:9], off
	v_mov_b32_e32 v6, s61
	s_or_b64 s[78:79], vcc, s[78:79]
	v_add_co_u32_e32 v4, vcc, s60, v4
	v_addc_co_u32_e32 v5, vcc, v5, v6, vcc
	s_andn2_b64 exec, exec, s[78:79]
	s_cbranch_execz .LBB28_34
.LBB28_32:                              ;   Parent Loop BB28_4 Depth=1
                                        ; =>  This Loop Header: Depth=2
                                        ;       Child Loop BB28_33 Depth 3
	v_mad_i64_i32 v[6:7], s[44:45], v1, s20, 0
	v_lshlrev_b64 v[6:7], 3, v[6:7]
	v_mov_b32_e32 v8, s55
	v_add_co_u32_e32 v6, vcc, s54, v6
	v_addc_co_u32_e32 v7, vcc, v8, v7, vcc
	global_load_dwordx2 v[8:9], v[6:7], off
	s_andn2_b64 vcc, exec, s[30:31]
	v_pk_mov_b32 v[10:11], v[4:5], v[4:5] op_sel:[0,1]
	s_mov_b64 s[80:81], s[74:75]
	s_mov_b64 s[82:83], s[72:73]
	s_mov_b32 s44, s91
	s_cbranch_vccnz .LBB28_31
.LBB28_33:                              ;   Parent Loop BB28_4 Depth=1
                                        ;     Parent Loop BB28_32 Depth=2
                                        ; =>    This Inner Loop Header: Depth=3
	global_load_dword v12, v36, s[80:81]
	global_load_dwordx2 v[14:15], v[10:11], off offset:-4
	global_load_dword v38, v36, s[82:83]
	s_add_i32 s44, s44, -1
	s_add_u32 s82, s82, -4
	s_addc_u32 s83, s83, -1
	s_add_u32 s80, s80, -4
	s_addc_u32 s81, s81, -1
	s_cmp_lt_u32 s44, 3
	s_waitcnt vmcnt(2)
	v_mul_f32_e32 v37, v8, v12
	v_mul_f32_e32 v39, v9, v12
	s_waitcnt vmcnt(1)
	v_pk_mul_f32 v[12:13], v[12:13], v[14:15] op_sel_hi:[0,1]
	s_waitcnt vmcnt(0)
	v_fma_f32 v14, v38, v14, -v37
	v_fma_f32 v15, v38, v15, -v39
	global_store_dwordx2 v[10:11], v[14:15], off offset:-4
	v_add_co_u32_e32 v10, vcc, -8, v10
	v_pk_fma_f32 v[8:9], v[8:9], v[38:39], v[12:13] op_sel_hi:[1,0,1]
	v_addc_co_u32_e32 v11, vcc, -1, v11, vcc
	s_cbranch_scc0 .LBB28_33
	s_branch .LBB28_31
.LBB28_34:                              ;   in Loop: Header=BB28_4 Depth=1
	s_or_b64 exec, exec, s[76:77]
	s_mov_b64 s[76:77], 0
.LBB28_35:                              ;   in Loop: Header=BB28_4 Depth=1
	s_andn2_b64 vcc, exec, s[76:77]
	s_cbranch_vccnz .LBB28_3
; %bb.36:                               ;   in Loop: Header=BB28_4 Depth=1
	s_andn2_b64 vcc, exec, s[38:39]
	s_mov_b64 s[76:77], -1
	s_cbranch_vccnz .LBB28_43
; %bb.37:                               ;   in Loop: Header=BB28_4 Depth=1
	s_and_saveexec_b64 s[76:77], s[0:1]
	s_cbranch_execz .LBB28_42
; %bb.38:                               ;   in Loop: Header=BB28_4 Depth=1
	s_lshl_b64 s[44:45], s[26:27], 3
	s_add_u32 s44, s54, s44
	s_addc_u32 s45, s55, s45
	v_mov_b32_e32 v1, s52
	v_add_co_u32_e32 v4, vcc, s53, v18
	s_add_u32 s48, s44, -8
	v_addc_co_u32_e32 v5, vcc, v19, v1, vcc
	s_addc_u32 s49, s45, -1
	s_mov_b64 s[78:79], 0
	v_mov_b32_e32 v1, v0
	s_branch .LBB28_40
.LBB28_39:                              ;   in Loop: Header=BB28_40 Depth=2
	v_add_u32_e32 v1, s4, v1
	v_cmp_le_i32_e32 vcc, s86, v1
	s_waitcnt vmcnt(0)
	global_store_dwordx2 v[6:7], v[8:9], off
	v_mov_b32_e32 v6, s61
	s_or_b64 s[78:79], vcc, s[78:79]
	v_add_co_u32_e32 v4, vcc, s60, v4
	v_addc_co_u32_e32 v5, vcc, v5, v6, vcc
	s_andn2_b64 exec, exec, s[78:79]
	s_cbranch_execz .LBB28_42
.LBB28_40:                              ;   Parent Loop BB28_4 Depth=1
                                        ; =>  This Loop Header: Depth=2
                                        ;       Child Loop BB28_41 Depth 3
	v_mad_i64_i32 v[6:7], s[44:45], v1, s20, 0
	v_lshlrev_b64 v[6:7], 3, v[6:7]
	v_mov_b32_e32 v8, s49
	v_add_co_u32_e32 v6, vcc, s48, v6
	v_addc_co_u32_e32 v7, vcc, v8, v7, vcc
	global_load_dwordx2 v[8:9], v[6:7], off
	s_andn2_b64 vcc, exec, s[30:31]
	v_pk_mov_b32 v[10:11], v[4:5], v[4:5] op_sel:[0,1]
	s_mov_b64 s[80:81], s[70:71]
	s_mov_b64 s[82:83], s[68:69]
	s_mov_b32 s44, s56
	s_cbranch_vccnz .LBB28_39
.LBB28_41:                              ;   Parent Loop BB28_4 Depth=1
                                        ;     Parent Loop BB28_40 Depth=2
                                        ; =>    This Inner Loop Header: Depth=3
	global_load_dwordx2 v[12:13], v[10:11], off offset:-4
	global_load_dword v14, v36, s[82:83]
	global_load_dword v38, v36, s[80:81]
	s_add_i32 s44, s44, -1
	s_add_u32 s82, s82, 4
	s_addc_u32 s83, s83, 0
	s_add_u32 s80, s80, 4
	s_addc_u32 s81, s81, 0
	s_cmp_eq_u32 s44, 0
	s_waitcnt vmcnt(1)
	v_mul_f32_e32 v40, v14, v12
	v_mul_f32_e32 v41, v14, v13
	s_waitcnt vmcnt(0)
	v_fmac_f32_e32 v40, v8, v38
	v_fmac_f32_e32 v41, v9, v38
	v_pk_mul_f32 v[12:13], v[38:39], v[12:13] op_sel_hi:[0,1]
	global_store_dwordx2 v[10:11], v[40:41], off offset:-4
	v_add_co_u32_e32 v10, vcc, 8, v10
	v_pk_fma_f32 v[8:9], v[8:9], v[14:15], v[12:13] op_sel_hi:[1,0,1] neg_lo:[0,0,1] neg_hi:[0,0,1]
	v_addc_co_u32_e32 v11, vcc, 0, v11, vcc
	s_cbranch_scc0 .LBB28_41
	s_branch .LBB28_39
.LBB28_42:                              ;   in Loop: Header=BB28_4 Depth=1
	s_or_b64 exec, exec, s[76:77]
	s_mov_b64 s[76:77], 0
.LBB28_43:                              ;   in Loop: Header=BB28_4 Depth=1
	s_andn2_b64 vcc, exec, s[76:77]
	s_cbranch_vccnz .LBB28_3
; %bb.44:                               ;   in Loop: Header=BB28_4 Depth=1
	s_andn2_b64 vcc, exec, s[40:41]
	s_mov_b64 s[76:77], -1
	s_cbranch_vccnz .LBB28_51
; %bb.45:                               ;   in Loop: Header=BB28_4 Depth=1
	s_and_saveexec_b64 s[76:77], s[0:1]
	s_cbranch_execz .LBB28_50
; %bb.46:                               ;   in Loop: Header=BB28_4 Depth=1
	s_lshl_b64 s[44:45], s[26:27], 3
	s_add_u32 s44, s54, s44
	s_addc_u32 s45, s55, s45
	v_mov_b32_e32 v1, s52
	v_add_co_u32_e32 v4, vcc, s53, v22
	s_add_u32 s48, s44, -8
	v_addc_co_u32_e32 v5, vcc, v23, v1, vcc
	s_addc_u32 s49, s45, -1
	s_mov_b64 s[78:79], 0
	v_mov_b32_e32 v1, v0
	s_branch .LBB28_48
.LBB28_47:                              ;   in Loop: Header=BB28_48 Depth=2
	v_add_u32_e32 v1, s4, v1
	v_cmp_le_i32_e32 vcc, s86, v1
	s_waitcnt vmcnt(0)
	global_store_dwordx2 v[6:7], v[8:9], off
	v_mov_b32_e32 v6, s61
	s_or_b64 s[78:79], vcc, s[78:79]
	v_add_co_u32_e32 v4, vcc, s60, v4
	v_addc_co_u32_e32 v5, vcc, v5, v6, vcc
	s_andn2_b64 exec, exec, s[78:79]
	s_cbranch_execz .LBB28_50
.LBB28_48:                              ;   Parent Loop BB28_4 Depth=1
                                        ; =>  This Loop Header: Depth=2
                                        ;       Child Loop BB28_49 Depth 3
	v_mad_i64_i32 v[6:7], s[44:45], v1, s20, 0
	v_lshlrev_b64 v[6:7], 3, v[6:7]
	v_mov_b32_e32 v8, s49
	v_add_co_u32_e32 v6, vcc, s48, v6
	v_addc_co_u32_e32 v7, vcc, v8, v7, vcc
	global_load_dwordx2 v[8:9], v[6:7], off
	s_andn2_b64 vcc, exec, s[30:31]
	v_pk_mov_b32 v[10:11], v[4:5], v[4:5] op_sel:[0,1]
	s_mov_b64 s[80:81], s[74:75]
	s_mov_b64 s[82:83], s[72:73]
	s_mov_b32 s44, s56
	s_cbranch_vccnz .LBB28_47
.LBB28_49:                              ;   Parent Loop BB28_4 Depth=1
                                        ;     Parent Loop BB28_48 Depth=2
                                        ; =>    This Inner Loop Header: Depth=3
	global_load_dwordx2 v[12:13], v[10:11], off offset:-4
	global_load_dword v14, v36, s[82:83]
	global_load_dword v38, v36, s[80:81]
	s_add_i32 s44, s44, -1
	s_add_u32 s82, s82, -4
	s_addc_u32 s83, s83, -1
	s_add_u32 s80, s80, -4
	s_addc_u32 s81, s81, -1
	s_cmp_eq_u32 s44, 0
	s_waitcnt vmcnt(1)
	v_mul_f32_e32 v40, v14, v12
	v_mul_f32_e32 v41, v14, v13
	s_waitcnt vmcnt(0)
	v_fmac_f32_e32 v40, v8, v38
	v_fmac_f32_e32 v41, v9, v38
	v_pk_mul_f32 v[12:13], v[38:39], v[12:13] op_sel_hi:[0,1]
	global_store_dwordx2 v[10:11], v[40:41], off offset:-4
	v_add_co_u32_e32 v10, vcc, -8, v10
	v_pk_fma_f32 v[8:9], v[8:9], v[14:15], v[12:13] op_sel_hi:[1,0,1] neg_lo:[0,0,1] neg_hi:[0,0,1]
	v_addc_co_u32_e32 v11, vcc, -1, v11, vcc
	s_cbranch_scc0 .LBB28_49
	s_branch .LBB28_47
.LBB28_50:                              ;   in Loop: Header=BB28_4 Depth=1
	s_or_b64 exec, exec, s[76:77]
	s_mov_b64 s[76:77], 0
.LBB28_51:                              ;   in Loop: Header=BB28_4 Depth=1
	s_andn2_b64 vcc, exec, s[76:77]
	s_cbranch_vccnz .LBB28_3
; %bb.52:                               ;   in Loop: Header=BB28_4 Depth=1
	s_andn2_b64 vcc, exec, s[42:43]
	s_mov_b64 s[72:73], -1
	s_cbranch_vccnz .LBB28_59
; %bb.53:                               ;   in Loop: Header=BB28_4 Depth=1
	s_and_saveexec_b64 s[72:73], s[2:3]
	s_cbranch_execz .LBB28_58
; %bb.54:                               ;   in Loop: Header=BB28_4 Depth=1
	s_lshl_b64 s[44:45], s[66:67], 3
	v_mov_b32_e32 v1, s52
	v_add_co_u32_e32 v4, vcc, s53, v24
	s_add_u32 s80, s54, s44
	v_addc_co_u32_e32 v5, vcc, v25, v1, vcc
	s_addc_u32 s81, s55, s45
	s_mov_b64 s[74:75], 0
	v_mov_b32_e32 v6, v0
	s_branch .LBB28_56
.LBB28_55:                              ;   in Loop: Header=BB28_56 Depth=2
	v_mov_b32_e32 v1, s81
	v_add_co_u32_e32 v8, vcc, s80, v8
	v_addc_co_u32_e32 v9, vcc, v1, v9, vcc
	v_add_u32_e32 v6, s4, v6
	v_cmp_le_i32_e32 vcc, s19, v6
	v_mov_b32_e32 v1, s65
	s_or_b64 s[74:75], vcc, s[74:75]
	v_add_co_u32_e32 v4, vcc, s64, v4
	v_addc_co_u32_e32 v5, vcc, v5, v1, vcc
	s_waitcnt vmcnt(0)
	global_store_dwordx2 v[8:9], v[10:11], off
	s_andn2_b64 exec, exec, s[74:75]
	s_cbranch_execz .LBB28_58
.LBB28_56:                              ;   Parent Loop BB28_4 Depth=1
                                        ; =>  This Loop Header: Depth=2
                                        ;       Child Loop BB28_57 Depth 3
	v_ashrrev_i32_e32 v7, 31, v6
	v_lshlrev_b64 v[8:9], 3, v[6:7]
	v_mov_b32_e32 v1, s55
	v_add_co_u32_e32 v10, vcc, s54, v8
	v_addc_co_u32_e32 v11, vcc, v1, v9, vcc
	global_load_dwordx2 v[10:11], v[10:11], off
	s_andn2_b64 vcc, exec, s[46:47]
	s_mov_b64 s[76:77], s[70:71]
	s_mov_b64 s[78:79], s[68:69]
	v_pk_mov_b32 v[12:13], v[4:5], v[4:5] op_sel:[0,1]
	s_mov_b32 s44, s18
	s_cbranch_vccnz .LBB28_55
.LBB28_57:                              ;   Parent Loop BB28_4 Depth=1
                                        ;     Parent Loop BB28_56 Depth=2
                                        ; =>    This Inner Loop Header: Depth=3
	v_mov_b32_e32 v1, s63
	v_add_co_u32_e32 v38, vcc, s62, v12
	global_load_dword v14, v36, s[76:77]
	v_addc_co_u32_e32 v39, vcc, v13, v1, vcc
	global_load_dwordx2 v[40:41], v[38:39], off
	global_load_dword v42, v36, s[78:79]
	s_add_i32 s44, s44, -1
	s_add_u32 s78, s78, 4
	s_addc_u32 s79, s79, 0
	s_add_u32 s76, s76, 4
	s_addc_u32 s77, s77, 0
	s_cmp_eq_u32 s44, 0
	s_waitcnt vmcnt(2)
	v_pk_mul_f32 v[44:45], v[10:11], v[14:15] op_sel_hi:[1,0]
	s_waitcnt vmcnt(1)
	v_mul_f32_e32 v46, v14, v40
	v_mul_f32_e32 v47, v14, v41
	s_waitcnt vmcnt(0)
	v_fmac_f32_e32 v46, v10, v42
	v_fmac_f32_e32 v47, v11, v42
	v_pk_fma_f32 v[10:11], v[42:43], v[40:41], v[44:45] op_sel_hi:[0,1,1] neg_lo:[0,0,1] neg_hi:[0,0,1]
	global_store_dwordx2 v[12:13], v[46:47], off
	v_pk_mov_b32 v[12:13], v[38:39], v[38:39] op_sel:[0,1]
	s_cbranch_scc0 .LBB28_57
	s_branch .LBB28_55
.LBB28_58:                              ;   in Loop: Header=BB28_4 Depth=1
	s_or_b64 exec, exec, s[72:73]
	s_mov_b64 s[72:73], 0
.LBB28_59:                              ;   in Loop: Header=BB28_4 Depth=1
	s_andn2_b64 vcc, exec, s[72:73]
	s_cbranch_vccnz .LBB28_3
; %bb.60:                               ;   in Loop: Header=BB28_4 Depth=1
	s_add_u32 s72, s5, s85
	s_addc_u32 s73, s21, s84
	v_mov_b32_e32 v1, s52
	v_add_co_u32_e32 v4, vcc, s53, v28
	v_readlane_b32 s44, v48, 0
	s_add_u32 s74, s57, s51
	v_addc_co_u32_e32 v5, vcc, v29, v1, vcc
	v_readlane_b32 s45, v48, 1
	s_addc_u32 s75, s92, s50
	s_andn2_b64 vcc, exec, s[44:45]
	s_mov_b64 s[76:77], -1
	s_cbranch_vccnz .LBB28_68
; %bb.61:                               ;   in Loop: Header=BB28_4 Depth=1
	s_and_saveexec_b64 s[76:77], s[2:3]
	s_cbranch_execz .LBB28_67
; %bb.62:                               ;   in Loop: Header=BB28_4 Depth=1
	s_lshl_b64 s[44:45], s[66:67], 3
	v_mov_b32_e32 v1, s52
	v_add_co_u32_e32 v6, vcc, s53, v26
	s_add_u32 s50, s54, s44
	v_addc_co_u32_e32 v1, vcc, v27, v1, vcc
	s_addc_u32 s51, s55, s45
	s_mov_b64 s[78:79], 0
	v_pk_mov_b32 v[8:9], v[4:5], v[4:5] op_sel:[0,1]
	v_mov_b32_e32 v10, v0
	s_branch .LBB28_64
.LBB28_63:                              ;   in Loop: Header=BB28_64 Depth=2
	v_mov_b32_e32 v7, s55
	v_add_co_u32_e32 v12, vcc, s54, v12
	v_addc_co_u32_e32 v13, vcc, v7, v13, vcc
	v_mov_b32_e32 v7, s65
	v_add_co_u32_e32 v6, vcc, s64, v6
	v_add_u32_e32 v10, s4, v10
	v_addc_co_u32_e32 v1, vcc, v1, v7, vcc
	v_cmp_le_i32_e32 vcc, s19, v10
	s_or_b64 s[78:79], vcc, s[78:79]
	v_add_co_u32_e32 v8, vcc, s64, v8
	v_addc_co_u32_e32 v9, vcc, v9, v7, vcc
	s_waitcnt vmcnt(0)
	global_store_dwordx2 v[12:13], v[14:15], off
	s_andn2_b64 exec, exec, s[78:79]
	s_cbranch_execz .LBB28_67
.LBB28_64:                              ;   Parent Loop BB28_4 Depth=1
                                        ; =>  This Loop Header: Depth=2
                                        ;       Child Loop BB28_66 Depth 3
	v_ashrrev_i32_e32 v11, 31, v10
	v_lshlrev_b64 v[12:13], 3, v[10:11]
	v_mov_b32_e32 v7, s51
	v_add_co_u32_e32 v14, vcc, s50, v12
	v_addc_co_u32_e32 v15, vcc, v7, v13, vcc
	global_load_dwordx2 v[14:15], v[14:15], off
	s_andn2_b64 vcc, exec, s[46:47]
	s_cbranch_vccnz .LBB28_63
; %bb.65:                               ;   in Loop: Header=BB28_64 Depth=2
	s_mov_b64 s[80:81], 0
	s_mov_b64 s[82:83], s[74:75]
	;; [unrolled: 1-line block ×3, first 2 shown]
	s_mov_b32 s48, s18
.LBB28_66:                              ;   Parent Loop BB28_4 Depth=1
                                        ;     Parent Loop BB28_64 Depth=2
                                        ; =>    This Inner Loop Header: Depth=3
	v_mov_b32_e32 v7, s81
	v_add_co_u32_e32 v42, vcc, s80, v6
	v_addc_co_u32_e32 v43, vcc, v1, v7, vcc
	global_load_dword v38, v36, s[84:85]
	global_load_dword v40, v36, s[82:83]
	s_add_i32 s48, s48, -1
	global_load_dwordx2 v[42:43], v[42:43], off
	v_add_co_u32_e32 v44, vcc, s80, v8
	s_sub_u32 s80, s80, s62
	s_subb_u32 s81, s81, s63
	s_add_u32 s84, s84, -4
	s_addc_u32 s85, s85, -1
	s_add_u32 s82, s82, -4
	v_addc_co_u32_e32 v45, vcc, v9, v7, vcc
	s_addc_u32 s83, s83, -1
	s_cmp_eq_u32 s48, 0
	s_waitcnt vmcnt(0)
	v_mul_f32_e32 v7, v40, v42
	v_mul_f32_e32 v11, v40, v43
	v_pk_mul_f32 v[42:43], v[38:39], v[42:43] op_sel_hi:[0,1]
	v_fma_f32 v46, v14, v38, -v7
	v_fma_f32 v47, v15, v38, -v11
	v_pk_fma_f32 v[14:15], v[14:15], v[40:41], v[42:43] op_sel_hi:[1,0,1]
	global_store_dwordx2 v[44:45], v[46:47], off offset:-4
	s_cbranch_scc0 .LBB28_66
	s_branch .LBB28_63
.LBB28_67:                              ;   in Loop: Header=BB28_4 Depth=1
	s_or_b64 exec, exec, s[76:77]
	s_mov_b64 s[76:77], 0
.LBB28_68:                              ;   in Loop: Header=BB28_4 Depth=1
	s_andn2_b64 vcc, exec, s[76:77]
	s_cbranch_vccnz .LBB28_3
; %bb.69:                               ;   in Loop: Header=BB28_4 Depth=1
	v_readlane_b32 s44, v48, 2
	v_readlane_b32 s45, v48, 3
	s_andn2_b64 vcc, exec, s[44:45]
	s_mov_b64 s[76:77], -1
	s_cbranch_vccnz .LBB28_76
; %bb.70:                               ;   in Loop: Header=BB28_4 Depth=1
	s_and_saveexec_b64 s[76:77], s[2:3]
	s_cbranch_execz .LBB28_75
; %bb.71:                               ;   in Loop: Header=BB28_4 Depth=1
	v_mov_b32_e32 v1, s52
	v_add_co_u32_e32 v6, vcc, s53, v30
	v_addc_co_u32_e32 v7, vcc, v31, v1, vcc
	s_mov_b64 s[78:79], 0
	v_mov_b32_e32 v8, v0
	s_branch .LBB28_73
.LBB28_72:                              ;   in Loop: Header=BB28_73 Depth=2
	v_add_u32_e32 v8, s4, v8
	v_cmp_le_i32_e32 vcc, s19, v8
	v_mov_b32_e32 v1, s65
	s_or_b64 s[78:79], vcc, s[78:79]
	v_add_co_u32_e32 v6, vcc, s64, v6
	v_addc_co_u32_e32 v7, vcc, v7, v1, vcc
	s_waitcnt vmcnt(0)
	global_store_dwordx2 v[10:11], v[12:13], off
	s_andn2_b64 exec, exec, s[78:79]
	s_cbranch_execz .LBB28_75
.LBB28_73:                              ;   Parent Loop BB28_4 Depth=1
                                        ; =>  This Loop Header: Depth=2
                                        ;       Child Loop BB28_74 Depth 3
	v_ashrrev_i32_e32 v9, 31, v8
	v_lshlrev_b64 v[10:11], 3, v[8:9]
	v_mov_b32_e32 v1, s55
	v_add_co_u32_e32 v10, vcc, s54, v10
	v_addc_co_u32_e32 v11, vcc, v1, v11, vcc
	global_load_dwordx2 v[12:13], v[10:11], off
	s_andn2_b64 vcc, exec, s[46:47]
	v_pk_mov_b32 v[14:15], v[6:7], v[6:7] op_sel:[0,1]
	s_mov_b32 s48, s18
	s_mov_b64 s[80:81], s[68:69]
	s_mov_b64 s[82:83], s[70:71]
	s_cbranch_vccnz .LBB28_72
.LBB28_74:                              ;   Parent Loop BB28_4 Depth=1
                                        ;     Parent Loop BB28_73 Depth=2
                                        ; =>    This Inner Loop Header: Depth=3
	global_load_dword v38, v36, s[82:83]
	global_load_dwordx2 v[40:41], v[14:15], off offset:-4
	global_load_dword v42, v36, s[80:81]
	s_add_u32 s82, s82, 4
	s_addc_u32 s83, s83, 0
	s_add_u32 s80, s80, 4
	v_mov_b32_e32 v1, s63
	s_addc_u32 s81, s81, 0
	s_add_i32 s48, s48, -1
	s_cmp_eq_u32 s48, 0
	s_waitcnt vmcnt(2)
	v_mul_f32_e32 v9, v12, v38
	v_mul_f32_e32 v37, v13, v38
	s_waitcnt vmcnt(1)
	v_pk_mul_f32 v[38:39], v[38:39], v[40:41] op_sel_hi:[0,1]
	s_waitcnt vmcnt(0)
	v_fma_f32 v40, v42, v40, -v9
	v_fma_f32 v41, v42, v41, -v37
	global_store_dwordx2 v[14:15], v[40:41], off offset:-4
	v_add_co_u32_e32 v14, vcc, s62, v14
	v_pk_fma_f32 v[12:13], v[12:13], v[42:43], v[38:39] op_sel_hi:[1,0,1]
	v_addc_co_u32_e32 v15, vcc, v15, v1, vcc
	s_cbranch_scc0 .LBB28_74
	s_branch .LBB28_72
.LBB28_75:                              ;   in Loop: Header=BB28_4 Depth=1
	s_or_b64 exec, exec, s[76:77]
	s_mov_b64 s[76:77], 0
.LBB28_76:                              ;   in Loop: Header=BB28_4 Depth=1
	s_andn2_b64 vcc, exec, s[76:77]
	s_cbranch_vccnz .LBB28_3
; %bb.77:                               ;   in Loop: Header=BB28_4 Depth=1
	v_readlane_b32 s44, v48, 4
	v_readlane_b32 s45, v48, 5
	s_andn2_b64 vcc, exec, s[44:45]
	s_mov_b64 s[76:77], -1
	s_cbranch_vccnz .LBB28_84
; %bb.78:                               ;   in Loop: Header=BB28_4 Depth=1
	s_and_saveexec_b64 s[76:77], s[2:3]
	s_cbranch_execz .LBB28_83
; %bb.79:                               ;   in Loop: Header=BB28_4 Depth=1
	s_mov_b64 s[78:79], 0
	v_mov_b32_e32 v6, v0
	s_branch .LBB28_81
.LBB28_80:                              ;   in Loop: Header=BB28_81 Depth=2
	v_add_u32_e32 v6, s4, v6
	v_cmp_le_i32_e32 vcc, s19, v6
	v_mov_b32_e32 v1, s65
	s_or_b64 s[78:79], vcc, s[78:79]
	v_add_co_u32_e32 v4, vcc, s64, v4
	v_addc_co_u32_e32 v5, vcc, v5, v1, vcc
	s_waitcnt vmcnt(0)
	global_store_dwordx2 v[8:9], v[10:11], off
	s_andn2_b64 exec, exec, s[78:79]
	s_cbranch_execz .LBB28_83
.LBB28_81:                              ;   Parent Loop BB28_4 Depth=1
                                        ; =>  This Loop Header: Depth=2
                                        ;       Child Loop BB28_82 Depth 3
	v_ashrrev_i32_e32 v7, 31, v6
	v_lshlrev_b64 v[8:9], 3, v[6:7]
	v_mov_b32_e32 v1, s55
	v_add_co_u32_e32 v8, vcc, s54, v8
	v_addc_co_u32_e32 v9, vcc, v1, v9, vcc
	global_load_dwordx2 v[10:11], v[8:9], off
	s_andn2_b64 vcc, exec, s[46:47]
	v_pk_mov_b32 v[12:13], v[4:5], v[4:5] op_sel:[0,1]
	s_mov_b64 s[80:81], s[74:75]
	s_mov_b64 s[82:83], s[72:73]
	s_mov_b32 s48, s93
	s_cbranch_vccnz .LBB28_80
.LBB28_82:                              ;   Parent Loop BB28_4 Depth=1
                                        ;     Parent Loop BB28_81 Depth=2
                                        ; =>    This Inner Loop Header: Depth=3
	global_load_dword v14, v36, s[80:81]
	global_load_dwordx2 v[38:39], v[12:13], off offset:-4
	global_load_dword v40, v36, s[82:83]
	s_add_i32 s48, s48, -1
	s_add_u32 s82, s82, -4
	s_addc_u32 s83, s83, -1
	s_add_u32 s80, s80, -4
	v_mov_b32_e32 v1, s95
	s_addc_u32 s81, s81, -1
	s_cmp_lt_u32 s48, 3
	s_waitcnt vmcnt(2)
	v_mul_f32_e32 v7, v10, v14
	v_mul_f32_e32 v37, v11, v14
	s_waitcnt vmcnt(1)
	v_pk_mul_f32 v[14:15], v[14:15], v[38:39] op_sel_hi:[0,1]
	s_waitcnt vmcnt(0)
	v_fma_f32 v38, v40, v38, -v7
	v_fma_f32 v39, v40, v39, -v37
	global_store_dwordx2 v[12:13], v[38:39], off offset:-4
	v_add_co_u32_e32 v12, vcc, s94, v12
	v_pk_fma_f32 v[10:11], v[10:11], v[40:41], v[14:15] op_sel_hi:[1,0,1]
	v_addc_co_u32_e32 v13, vcc, v13, v1, vcc
	s_cbranch_scc0 .LBB28_82
	s_branch .LBB28_80
.LBB28_83:                              ;   in Loop: Header=BB28_4 Depth=1
	s_or_b64 exec, exec, s[76:77]
	s_mov_b64 s[76:77], 0
.LBB28_84:                              ;   in Loop: Header=BB28_4 Depth=1
	s_andn2_b64 vcc, exec, s[76:77]
	s_cbranch_vccnz .LBB28_3
; %bb.85:                               ;   in Loop: Header=BB28_4 Depth=1
	v_readlane_b32 s44, v48, 6
	v_readlane_b32 s45, v48, 7
	s_andn2_b64 vcc, exec, s[44:45]
	s_mov_b64 s[76:77], -1
	s_cbranch_vccnz .LBB28_92
; %bb.86:                               ;   in Loop: Header=BB28_4 Depth=1
	s_and_saveexec_b64 s[76:77], s[2:3]
	s_cbranch_execz .LBB28_91
; %bb.87:                               ;   in Loop: Header=BB28_4 Depth=1
	s_lshl_b64 s[44:45], s[66:67], 3
	v_mov_b32_e32 v1, s52
	v_add_co_u32_e32 v4, vcc, s53, v32
	s_add_u32 s50, s54, s44
	v_addc_co_u32_e32 v5, vcc, v33, v1, vcc
	s_addc_u32 s51, s55, s45
	s_mov_b64 s[78:79], 0
	v_mov_b32_e32 v6, v0
	s_branch .LBB28_89
.LBB28_88:                              ;   in Loop: Header=BB28_89 Depth=2
	v_add_u32_e32 v6, s4, v6
	v_cmp_le_i32_e32 vcc, s19, v6
	v_mov_b32_e32 v1, s65
	s_or_b64 s[78:79], vcc, s[78:79]
	v_add_co_u32_e32 v4, vcc, s64, v4
	v_addc_co_u32_e32 v5, vcc, v5, v1, vcc
	s_waitcnt vmcnt(0)
	global_store_dwordx2 v[8:9], v[10:11], off
	s_andn2_b64 exec, exec, s[78:79]
	s_cbranch_execz .LBB28_91
.LBB28_89:                              ;   Parent Loop BB28_4 Depth=1
                                        ; =>  This Loop Header: Depth=2
                                        ;       Child Loop BB28_90 Depth 3
	v_ashrrev_i32_e32 v7, 31, v6
	v_lshlrev_b64 v[8:9], 3, v[6:7]
	v_mov_b32_e32 v1, s51
	v_add_co_u32_e32 v8, vcc, s50, v8
	v_addc_co_u32_e32 v9, vcc, v1, v9, vcc
	global_load_dwordx2 v[10:11], v[8:9], off
	s_andn2_b64 vcc, exec, s[46:47]
	v_pk_mov_b32 v[12:13], v[4:5], v[4:5] op_sel:[0,1]
	s_mov_b64 s[80:81], s[70:71]
	s_mov_b64 s[82:83], s[68:69]
	s_mov_b32 s48, s18
	s_cbranch_vccnz .LBB28_88
.LBB28_90:                              ;   Parent Loop BB28_4 Depth=1
                                        ;     Parent Loop BB28_89 Depth=2
                                        ; =>    This Inner Loop Header: Depth=3
	global_load_dwordx2 v[14:15], v[12:13], off offset:-4
	global_load_dword v38, v36, s[82:83]
	global_load_dword v40, v36, s[80:81]
	s_add_i32 s48, s48, -1
	s_add_u32 s82, s82, 4
	s_addc_u32 s83, s83, 0
	s_add_u32 s80, s80, 4
	v_mov_b32_e32 v1, s63
	s_addc_u32 s81, s81, 0
	s_cmp_eq_u32 s48, 0
	s_waitcnt vmcnt(1)
	v_mul_f32_e32 v42, v38, v14
	v_mul_f32_e32 v43, v38, v15
	s_waitcnt vmcnt(0)
	v_fmac_f32_e32 v42, v10, v40
	v_fmac_f32_e32 v43, v11, v40
	v_pk_mul_f32 v[14:15], v[40:41], v[14:15] op_sel_hi:[0,1]
	global_store_dwordx2 v[12:13], v[42:43], off offset:-4
	v_add_co_u32_e32 v12, vcc, s62, v12
	v_pk_fma_f32 v[10:11], v[10:11], v[38:39], v[14:15] op_sel_hi:[1,0,1] neg_lo:[0,0,1] neg_hi:[0,0,1]
	v_addc_co_u32_e32 v13, vcc, v13, v1, vcc
	s_cbranch_scc0 .LBB28_90
	s_branch .LBB28_88
.LBB28_91:                              ;   in Loop: Header=BB28_4 Depth=1
	s_or_b64 exec, exec, s[76:77]
	s_mov_b64 s[76:77], 0
.LBB28_92:                              ;   in Loop: Header=BB28_4 Depth=1
	s_andn2_b64 vcc, exec, s[76:77]
	s_cbranch_vccnz .LBB28_3
; %bb.93:                               ;   in Loop: Header=BB28_4 Depth=1
	s_mov_b64 s[68:69], exec
	v_readlane_b32 s44, v48, 8
	v_readlane_b32 s45, v48, 9
	s_and_b64 s[44:45], s[68:69], s[44:45]
	s_mov_b64 exec, s[44:45]
	s_cbranch_execz .LBB28_2
; %bb.94:                               ;   in Loop: Header=BB28_4 Depth=1
	s_lshl_b64 s[44:45], s[66:67], 3
	v_mov_b32_e32 v1, s52
	v_add_co_u32_e32 v4, vcc, s53, v34
	s_add_u32 s50, s54, s44
	v_addc_co_u32_e32 v5, vcc, v35, v1, vcc
	s_addc_u32 s51, s55, s45
	s_mov_b64 s[70:71], 0
	v_mov_b32_e32 v6, v0
	s_branch .LBB28_96
.LBB28_95:                              ;   in Loop: Header=BB28_96 Depth=2
	v_add_u32_e32 v6, s4, v6
	v_cmp_le_i32_e32 vcc, s19, v6
	v_mov_b32_e32 v1, s65
	s_or_b64 s[70:71], vcc, s[70:71]
	v_add_co_u32_e32 v4, vcc, s64, v4
	v_addc_co_u32_e32 v5, vcc, v5, v1, vcc
	s_waitcnt vmcnt(0)
	global_store_dwordx2 v[8:9], v[10:11], off
	s_andn2_b64 exec, exec, s[70:71]
	s_cbranch_execz .LBB28_2
.LBB28_96:                              ;   Parent Loop BB28_4 Depth=1
                                        ; =>  This Loop Header: Depth=2
                                        ;       Child Loop BB28_97 Depth 3
	v_ashrrev_i32_e32 v7, 31, v6
	v_lshlrev_b64 v[8:9], 3, v[6:7]
	v_mov_b32_e32 v1, s51
	v_add_co_u32_e32 v8, vcc, s50, v8
	v_addc_co_u32_e32 v9, vcc, v1, v9, vcc
	global_load_dwordx2 v[10:11], v[8:9], off
	s_andn2_b64 vcc, exec, s[46:47]
	v_pk_mov_b32 v[12:13], v[4:5], v[4:5] op_sel:[0,1]
	s_mov_b64 s[76:77], s[74:75]
	s_mov_b64 s[78:79], s[72:73]
	s_mov_b32 s48, s18
	s_cbranch_vccnz .LBB28_95
.LBB28_97:                              ;   Parent Loop BB28_4 Depth=1
                                        ;     Parent Loop BB28_96 Depth=2
                                        ; =>    This Inner Loop Header: Depth=3
	global_load_dwordx2 v[14:15], v[12:13], off offset:-4
	global_load_dword v38, v36, s[78:79]
	global_load_dword v40, v36, s[76:77]
	s_add_i32 s48, s48, -1
	s_add_u32 s78, s78, -4
	s_addc_u32 s79, s79, -1
	s_add_u32 s76, s76, -4
	v_mov_b32_e32 v1, s95
	s_addc_u32 s77, s77, -1
	s_cmp_eq_u32 s48, 0
	s_waitcnt vmcnt(1)
	v_mul_f32_e32 v42, v38, v14
	v_mul_f32_e32 v43, v38, v15
	s_waitcnt vmcnt(0)
	v_fmac_f32_e32 v42, v10, v40
	v_fmac_f32_e32 v43, v11, v40
	v_pk_mul_f32 v[14:15], v[40:41], v[14:15] op_sel_hi:[0,1]
	global_store_dwordx2 v[12:13], v[42:43], off offset:-4
	v_add_co_u32_e32 v12, vcc, s94, v12
	v_pk_fma_f32 v[10:11], v[10:11], v[38:39], v[14:15] op_sel_hi:[1,0,1] neg_lo:[0,0,1] neg_hi:[0,0,1]
	v_addc_co_u32_e32 v13, vcc, v13, v1, vcc
	s_cbranch_scc0 .LBB28_97
	s_branch .LBB28_95
.LBB28_98:
	s_endpgm
	.section	.rodata,"a",@progbits
	.p2align	6, 0x0
	.amdhsa_kernel _ZN9rocsolver6v33100L11lasr_kernelI19rocblas_complex_numIfEfPS3_iEEv13rocblas_side_14rocblas_pivot_15rocblas_direct_T2_S8_PT0_lSA_lT1_lS8_lS8_
		.amdhsa_group_segment_fixed_size 0
		.amdhsa_private_segment_fixed_size 0
		.amdhsa_kernarg_size 352
		.amdhsa_user_sgpr_count 6
		.amdhsa_user_sgpr_private_segment_buffer 1
		.amdhsa_user_sgpr_dispatch_ptr 0
		.amdhsa_user_sgpr_queue_ptr 0
		.amdhsa_user_sgpr_kernarg_segment_ptr 1
		.amdhsa_user_sgpr_dispatch_id 0
		.amdhsa_user_sgpr_flat_scratch_init 0
		.amdhsa_user_sgpr_kernarg_preload_length 0
		.amdhsa_user_sgpr_kernarg_preload_offset 0
		.amdhsa_user_sgpr_private_segment_size 0
		.amdhsa_uses_dynamic_stack 0
		.amdhsa_system_sgpr_private_segment_wavefront_offset 0
		.amdhsa_system_sgpr_workgroup_id_x 1
		.amdhsa_system_sgpr_workgroup_id_y 0
		.amdhsa_system_sgpr_workgroup_id_z 1
		.amdhsa_system_sgpr_workgroup_info 0
		.amdhsa_system_vgpr_workitem_id 0
		.amdhsa_next_free_vgpr 49
		.amdhsa_next_free_sgpr 96
		.amdhsa_accum_offset 52
		.amdhsa_reserve_vcc 1
		.amdhsa_reserve_flat_scratch 0
		.amdhsa_float_round_mode_32 0
		.amdhsa_float_round_mode_16_64 0
		.amdhsa_float_denorm_mode_32 3
		.amdhsa_float_denorm_mode_16_64 3
		.amdhsa_dx10_clamp 1
		.amdhsa_ieee_mode 1
		.amdhsa_fp16_overflow 0
		.amdhsa_tg_split 0
		.amdhsa_exception_fp_ieee_invalid_op 0
		.amdhsa_exception_fp_denorm_src 0
		.amdhsa_exception_fp_ieee_div_zero 0
		.amdhsa_exception_fp_ieee_overflow 0
		.amdhsa_exception_fp_ieee_underflow 0
		.amdhsa_exception_fp_ieee_inexact 0
		.amdhsa_exception_int_div_zero 0
	.end_amdhsa_kernel
	.section	.text._ZN9rocsolver6v33100L11lasr_kernelI19rocblas_complex_numIfEfPS3_iEEv13rocblas_side_14rocblas_pivot_15rocblas_direct_T2_S8_PT0_lSA_lT1_lS8_lS8_,"axG",@progbits,_ZN9rocsolver6v33100L11lasr_kernelI19rocblas_complex_numIfEfPS3_iEEv13rocblas_side_14rocblas_pivot_15rocblas_direct_T2_S8_PT0_lSA_lT1_lS8_lS8_,comdat
.Lfunc_end28:
	.size	_ZN9rocsolver6v33100L11lasr_kernelI19rocblas_complex_numIfEfPS3_iEEv13rocblas_side_14rocblas_pivot_15rocblas_direct_T2_S8_PT0_lSA_lT1_lS8_lS8_, .Lfunc_end28-_ZN9rocsolver6v33100L11lasr_kernelI19rocblas_complex_numIfEfPS3_iEEv13rocblas_side_14rocblas_pivot_15rocblas_direct_T2_S8_PT0_lSA_lT1_lS8_lS8_
                                        ; -- End function
	.section	.AMDGPU.csdata,"",@progbits
; Kernel info:
; codeLenInByte = 4668
; NumSgprs: 100
; NumVgprs: 49
; NumAgprs: 0
; TotalNumVgprs: 49
; ScratchSize: 0
; MemoryBound: 0
; FloatMode: 240
; IeeeMode: 1
; LDSByteSize: 0 bytes/workgroup (compile time only)
; SGPRBlocks: 12
; VGPRBlocks: 6
; NumSGPRsForWavesPerEU: 100
; NumVGPRsForWavesPerEU: 49
; AccumOffset: 52
; Occupancy: 8
; WaveLimiterHint : 0
; COMPUTE_PGM_RSRC2:SCRATCH_EN: 0
; COMPUTE_PGM_RSRC2:USER_SGPR: 6
; COMPUTE_PGM_RSRC2:TRAP_HANDLER: 0
; COMPUTE_PGM_RSRC2:TGID_X_EN: 1
; COMPUTE_PGM_RSRC2:TGID_Y_EN: 0
; COMPUTE_PGM_RSRC2:TGID_Z_EN: 1
; COMPUTE_PGM_RSRC2:TIDIG_COMP_CNT: 0
; COMPUTE_PGM_RSRC3_GFX90A:ACCUM_OFFSET: 12
; COMPUTE_PGM_RSRC3_GFX90A:TG_SPLIT: 0
	.section	.text._ZN9rocsolver6v33100L11scal_kernelIf19rocblas_complex_numIfEiEEvT1_T_PT0_S4_,"axG",@progbits,_ZN9rocsolver6v33100L11scal_kernelIf19rocblas_complex_numIfEiEEvT1_T_PT0_S4_,comdat
	.globl	_ZN9rocsolver6v33100L11scal_kernelIf19rocblas_complex_numIfEiEEvT1_T_PT0_S4_ ; -- Begin function _ZN9rocsolver6v33100L11scal_kernelIf19rocblas_complex_numIfEiEEvT1_T_PT0_S4_
	.p2align	8
	.type	_ZN9rocsolver6v33100L11scal_kernelIf19rocblas_complex_numIfEiEEvT1_T_PT0_S4_,@function
_ZN9rocsolver6v33100L11scal_kernelIf19rocblas_complex_numIfEiEEvT1_T_PT0_S4_: ; @_ZN9rocsolver6v33100L11scal_kernelIf19rocblas_complex_numIfEiEEvT1_T_PT0_S4_
; %bb.0:
	s_load_dwordx2 s[2:3], s[4:5], 0x0
	s_waitcnt lgkmcnt(0)
	s_cmp_lt_i32 s2, 1
	s_cbranch_scc1 .LBB29_10
; %bb.1:
	s_load_dword s0, s[4:5], 0x24
	s_load_dword s1, s[4:5], 0x18
	s_load_dwordx2 s[8:9], s[4:5], 0x8
	s_load_dword s12, s[4:5], 0x10
	s_waitcnt lgkmcnt(0)
	s_and_b32 s0, s0, 0xffff
	s_mul_i32 s6, s6, s0
	v_add_u32_e32 v0, s6, v0
	s_mul_i32 s4, s1, s0
	s_cmp_eq_u32 s12, 1
	v_cmp_gt_i32_e64 s[0:1], s2, v0
	s_mov_b64 s[6:7], -1
	s_cbranch_scc1 .LBB29_6
; %bb.2:
	s_and_saveexec_b64 s[6:7], s[0:1]
	s_cbranch_execz .LBB29_5
; %bb.3:
	v_mad_i64_i32 v[2:3], s[14:15], s12, v0, 0
	v_lshlrev_b64 v[2:3], 3, v[2:3]
	s_mul_hi_i32 s13, s12, s4
	s_mul_i32 s12, s12, s4
	v_mov_b32_e32 v1, s9
	v_add_co_u32_e32 v2, vcc, s8, v2
	s_lshl_b64 s[12:13], s[12:13], 3
	s_mov_b32 s10, s3
	s_mov_b32 s11, s3
	v_addc_co_u32_e32 v3, vcc, v1, v3, vcc
	s_mov_b64 s[14:15], 0
	v_mov_b32_e32 v1, s13
	v_mov_b32_e32 v4, v0
.LBB29_4:                               ; =>This Inner Loop Header: Depth=1
	global_load_dwordx2 v[6:7], v[2:3], off
	v_add_u32_e32 v4, s4, v4
	v_cmp_le_i32_e32 vcc, s2, v4
	s_or_b64 s[14:15], vcc, s[14:15]
	s_waitcnt vmcnt(0)
	v_pk_mul_f32 v[6:7], v[6:7], s[10:11]
	global_store_dwordx2 v[2:3], v[6:7], off
	v_add_co_u32_e32 v2, vcc, s12, v2
	v_addc_co_u32_e32 v3, vcc, v3, v1, vcc
	s_andn2_b64 exec, exec, s[14:15]
	s_cbranch_execnz .LBB29_4
.LBB29_5:
	s_or_b64 exec, exec, s[6:7]
	s_mov_b64 s[6:7], 0
.LBB29_6:
	s_andn2_b64 vcc, exec, s[6:7]
	s_cbranch_vccnz .LBB29_10
; %bb.7:
	s_and_saveexec_b64 s[6:7], s[0:1]
	s_cbranch_execz .LBB29_10
; %bb.8:
	v_ashrrev_i32_e32 v1, 31, v0
	v_lshlrev_b64 v[2:3], 3, v[0:1]
	s_ashr_i32 s5, s4, 31
	v_mov_b32_e32 v1, s9
	v_add_co_u32_e32 v2, vcc, s8, v2
	s_lshl_b64 s[6:7], s[4:5], 3
	s_mov_b32 s0, s3
	s_mov_b32 s1, s3
	v_addc_co_u32_e32 v3, vcc, v1, v3, vcc
	s_mov_b64 s[8:9], 0
	v_mov_b32_e32 v1, s7
.LBB29_9:                               ; =>This Inner Loop Header: Depth=1
	global_load_dwordx2 v[4:5], v[2:3], off
	v_add_u32_e32 v0, s4, v0
	v_cmp_le_i32_e32 vcc, s2, v0
	s_or_b64 s[8:9], vcc, s[8:9]
	s_waitcnt vmcnt(0)
	v_pk_mul_f32 v[4:5], v[4:5], s[0:1]
	global_store_dwordx2 v[2:3], v[4:5], off
	v_add_co_u32_e32 v2, vcc, s6, v2
	v_addc_co_u32_e32 v3, vcc, v3, v1, vcc
	s_andn2_b64 exec, exec, s[8:9]
	s_cbranch_execnz .LBB29_9
.LBB29_10:
	s_endpgm
	.section	.rodata,"a",@progbits
	.p2align	6, 0x0
	.amdhsa_kernel _ZN9rocsolver6v33100L11scal_kernelIf19rocblas_complex_numIfEiEEvT1_T_PT0_S4_
		.amdhsa_group_segment_fixed_size 0
		.amdhsa_private_segment_fixed_size 0
		.amdhsa_kernarg_size 280
		.amdhsa_user_sgpr_count 6
		.amdhsa_user_sgpr_private_segment_buffer 1
		.amdhsa_user_sgpr_dispatch_ptr 0
		.amdhsa_user_sgpr_queue_ptr 0
		.amdhsa_user_sgpr_kernarg_segment_ptr 1
		.amdhsa_user_sgpr_dispatch_id 0
		.amdhsa_user_sgpr_flat_scratch_init 0
		.amdhsa_user_sgpr_kernarg_preload_length 0
		.amdhsa_user_sgpr_kernarg_preload_offset 0
		.amdhsa_user_sgpr_private_segment_size 0
		.amdhsa_uses_dynamic_stack 0
		.amdhsa_system_sgpr_private_segment_wavefront_offset 0
		.amdhsa_system_sgpr_workgroup_id_x 1
		.amdhsa_system_sgpr_workgroup_id_y 0
		.amdhsa_system_sgpr_workgroup_id_z 0
		.amdhsa_system_sgpr_workgroup_info 0
		.amdhsa_system_vgpr_workitem_id 0
		.amdhsa_next_free_vgpr 8
		.amdhsa_next_free_sgpr 16
		.amdhsa_accum_offset 8
		.amdhsa_reserve_vcc 1
		.amdhsa_reserve_flat_scratch 0
		.amdhsa_float_round_mode_32 0
		.amdhsa_float_round_mode_16_64 0
		.amdhsa_float_denorm_mode_32 3
		.amdhsa_float_denorm_mode_16_64 3
		.amdhsa_dx10_clamp 1
		.amdhsa_ieee_mode 1
		.amdhsa_fp16_overflow 0
		.amdhsa_tg_split 0
		.amdhsa_exception_fp_ieee_invalid_op 0
		.amdhsa_exception_fp_denorm_src 0
		.amdhsa_exception_fp_ieee_div_zero 0
		.amdhsa_exception_fp_ieee_overflow 0
		.amdhsa_exception_fp_ieee_underflow 0
		.amdhsa_exception_fp_ieee_inexact 0
		.amdhsa_exception_int_div_zero 0
	.end_amdhsa_kernel
	.section	.text._ZN9rocsolver6v33100L11scal_kernelIf19rocblas_complex_numIfEiEEvT1_T_PT0_S4_,"axG",@progbits,_ZN9rocsolver6v33100L11scal_kernelIf19rocblas_complex_numIfEiEEvT1_T_PT0_S4_,comdat
.Lfunc_end29:
	.size	_ZN9rocsolver6v33100L11scal_kernelIf19rocblas_complex_numIfEiEEvT1_T_PT0_S4_, .Lfunc_end29-_ZN9rocsolver6v33100L11scal_kernelIf19rocblas_complex_numIfEiEEvT1_T_PT0_S4_
                                        ; -- End function
	.section	.AMDGPU.csdata,"",@progbits
; Kernel info:
; codeLenInByte = 352
; NumSgprs: 20
; NumVgprs: 8
; NumAgprs: 0
; TotalNumVgprs: 8
; ScratchSize: 0
; MemoryBound: 0
; FloatMode: 240
; IeeeMode: 1
; LDSByteSize: 0 bytes/workgroup (compile time only)
; SGPRBlocks: 2
; VGPRBlocks: 0
; NumSGPRsForWavesPerEU: 20
; NumVGPRsForWavesPerEU: 8
; AccumOffset: 8
; Occupancy: 8
; WaveLimiterHint : 0
; COMPUTE_PGM_RSRC2:SCRATCH_EN: 0
; COMPUTE_PGM_RSRC2:USER_SGPR: 6
; COMPUTE_PGM_RSRC2:TRAP_HANDLER: 0
; COMPUTE_PGM_RSRC2:TGID_X_EN: 1
; COMPUTE_PGM_RSRC2:TGID_Y_EN: 0
; COMPUTE_PGM_RSRC2:TGID_Z_EN: 0
; COMPUTE_PGM_RSRC2:TIDIG_COMP_CNT: 0
; COMPUTE_PGM_RSRC3_GFX90A:ACCUM_OFFSET: 1
; COMPUTE_PGM_RSRC3_GFX90A:TG_SPLIT: 0
	.section	.text._ZN9rocsolver6v33100L17bdsqr_lower2upperI19rocblas_complex_numIfEfPS3_S4_EEviiiPT0_lS6_lT1_iilT2_iilPiS6_lS9_,"axG",@progbits,_ZN9rocsolver6v33100L17bdsqr_lower2upperI19rocblas_complex_numIfEfPS3_S4_EEviiiPT0_lS6_lT1_iilT2_iilPiS6_lS9_,comdat
	.globl	_ZN9rocsolver6v33100L17bdsqr_lower2upperI19rocblas_complex_numIfEfPS3_S4_EEviiiPT0_lS6_lT1_iilT2_iilPiS6_lS9_ ; -- Begin function _ZN9rocsolver6v33100L17bdsqr_lower2upperI19rocblas_complex_numIfEfPS3_S4_EEviiiPT0_lS6_lT1_iilT2_iilPiS6_lS9_
	.p2align	8
	.type	_ZN9rocsolver6v33100L17bdsqr_lower2upperI19rocblas_complex_numIfEfPS3_S4_EEviiiPT0_lS6_lT1_iilT2_iilPiS6_lS9_,@function
_ZN9rocsolver6v33100L17bdsqr_lower2upperI19rocblas_complex_numIfEfPS3_S4_EEviiiPT0_lS6_lT1_iilT2_iilPiS6_lS9_: ; @_ZN9rocsolver6v33100L17bdsqr_lower2upperI19rocblas_complex_numIfEfPS3_S4_EEviiiPT0_lS6_lT1_iilT2_iilPiS6_lS9_
; %bb.0:
	s_load_dwordx2 s[0:1], s[4:5], 0x78
	s_mov_b32 s28, s7
	s_ashr_i32 s29, s7, 31
	s_lshl_b64 s[2:3], s[28:29], 2
	s_waitcnt lgkmcnt(0)
	s_add_u32 s0, s0, s2
	s_addc_u32 s1, s1, s3
	s_load_dword s0, s[0:1], 0x8
	s_waitcnt lgkmcnt(0)
	s_cmp_lg_u32 s0, 0
	s_cbranch_scc1 .LBB30_34
; %bb.1:
	s_load_dwordx8 s[8:15], s[4:5], 0x30
	s_load_dwordx4 s[0:3], s[4:5], 0x68
	s_mov_b64 s[6:7], 0
	s_mov_b64 s[24:25], 0
	s_waitcnt lgkmcnt(0)
	s_cmp_eq_u64 s[8:9], 0
	s_cbranch_scc1 .LBB30_3
; %bb.2:
	s_ashr_i32 s17, s10, 31
	s_mov_b32 s16, s10
	s_mul_i32 s10, s28, s13
	s_mul_hi_u32 s13, s28, s12
	s_add_i32 s10, s13, s10
	s_mul_i32 s13, s29, s12
	s_add_i32 s13, s10, s13
	s_mul_i32 s12, s28, s12
	s_lshl_b64 s[12:13], s[12:13], 3
	s_add_u32 s10, s8, s12
	s_addc_u32 s12, s9, s13
	s_lshl_b64 s[8:9], s[16:17], 3
	s_add_u32 s24, s10, s8
	s_addc_u32 s25, s12, s9
.LBB30_3:
	s_load_dwordx2 s[8:9], s[4:5], 0x50
	s_cmp_eq_u64 s[14:15], 0
	s_cbranch_scc1 .LBB30_5
; %bb.4:
	s_load_dwordx2 s[6:7], s[4:5], 0x58
	s_waitcnt lgkmcnt(0)
	s_ashr_i32 s13, s8, 31
	s_mov_b32 s12, s8
	s_mul_i32 s7, s28, s7
	s_mul_hi_u32 s8, s28, s6
	s_mul_i32 s10, s29, s6
	s_add_i32 s7, s8, s7
	s_add_i32 s7, s7, s10
	s_mul_i32 s6, s28, s6
	s_lshl_b64 s[6:7], s[6:7], 3
	s_add_u32 s8, s14, s6
	s_addc_u32 s10, s15, s7
	s_lshl_b64 s[6:7], s[12:13], 3
	s_add_u32 s6, s8, s6
	s_addc_u32 s7, s10, s7
.LBB30_5:
	s_mul_i32 s3, s28, s3
	s_waitcnt lgkmcnt(0)
	s_mul_hi_u32 s8, s28, s2
	s_load_dwordx4 s[20:23], s[4:5], 0x0
	s_add_i32 s3, s8, s3
	s_mul_i32 s8, s29, s2
	s_add_i32 s3, s3, s8
	s_mul_i32 s2, s28, s2
	s_lshl_b64 s[2:3], s[2:3], 2
	s_add_u32 s8, s0, s2
	s_waitcnt lgkmcnt(0)
	s_addc_u32 s23, s1, s3
	v_cmp_eq_u32_e32 vcc, 0, v0
	s_and_saveexec_b64 s[2:3], vcc
	s_cbranch_execz .LBB30_22
; %bb.6:
	s_load_dwordx8 s[12:19], s[4:5], 0x10
	s_waitcnt lgkmcnt(0)
	s_mul_i32 s0, s28, s15
	s_mul_hi_u32 s1, s28, s14
	s_mul_i32 s10, s29, s14
	s_add_i32 s0, s1, s0
	s_add_i32 s1, s0, s10
	s_mul_i32 s0, s28, s14
	s_lshl_b64 s[0:1], s[0:1], 2
	s_add_u32 s14, s12, s0
	s_addc_u32 s15, s13, s1
	s_load_dword s10, s[14:15], 0x0
	s_add_i32 s26, s20, -1
	s_cmp_lt_i32 s20, 2
	s_waitcnt lgkmcnt(0)
	v_mov_b32_e32 v3, s10
	s_cbranch_scc1 .LBB30_21
; %bb.7:
	s_mul_i32 s19, s28, s19
	s_mul_hi_u32 s27, s28, s18
	s_add_i32 s19, s27, s19
	s_mul_i32 s27, s29, s18
	s_add_i32 s19, s19, s27
	s_mul_i32 s18, s28, s18
	s_lshl_b64 s[18:19], s[18:19], 2
	s_add_u32 s30, s18, s16
	s_addc_u32 s31, s19, s17
	s_or_b32 s18, s22, s21
	s_cmp_lg_u32 s18, 0
	s_cselect_b64 s[18:19], -1, 0
	s_add_u32 s28, s8, 16
	s_addc_u32 s29, s23, 0
	s_load_dword s16, s[30:31], 0x0
	s_add_u32 s0, s0, s12
	s_addc_u32 s1, s1, s13
	s_add_u32 s12, s0, 4
	s_addc_u32 s13, s1, 0
	s_add_u32 s30, s30, 4
	s_mov_b32 s17, 0
	s_addc_u32 s31, s31, 0
	v_mov_b32_e32 v3, s10
	s_waitcnt lgkmcnt(0)
	v_mov_b32_e32 v4, s16
	s_mov_b32 s10, 0xf800000
	v_mov_b32_e32 v1, 0x260
	v_mov_b32_e32 v2, 0
	s_mov_b64 s[34:35], s[28:29]
	s_mov_b32 s27, 0
	s_branch .LBB30_9
.LBB30_8:                               ;   in Loop: Header=BB30_9 Depth=1
	s_add_i32 s27, s27, 1
	s_add_u32 s34, s34, 4
	s_addc_u32 s35, s35, 0
	s_add_u32 s12, s12, 4
	s_addc_u32 s13, s13, 0
	;; [unrolled: 2-line block ×3, first 2 shown]
	s_cmp_lg_u32 s26, s27
	s_waitcnt vmcnt(0)
	v_mul_f32_e32 v3, v5, v3
	s_cbranch_scc0 .LBB30_21
.LBB30_9:                               ; =>This Inner Loop Header: Depth=1
	v_cmp_eq_f32_e32 vcc, 0, v4
	s_cbranch_vccnz .LBB30_13
; %bb.10:                               ;   in Loop: Header=BB30_9 Depth=1
	v_cmp_neq_f32_e32 vcc, 0, v3
	s_cbranch_vccz .LBB30_14
; %bb.11:                               ;   in Loop: Header=BB30_9 Depth=1
	v_cmp_ngt_f32_e64 s[0:1], |v4|, |v3|
	s_and_b64 vcc, exec, s[0:1]
	s_cbranch_vccz .LBB30_15
; %bb.12:                               ;   in Loop: Header=BB30_9 Depth=1
	v_div_scale_f32 v5, s[0:1], v3, v3, -v4
	v_rcp_f32_e32 v6, v5
	v_div_scale_f32 v7, vcc, -v4, v3, -v4
	v_fma_f32 v8, -v5, v6, 1.0
	v_fmac_f32_e32 v6, v8, v6
	v_mul_f32_e32 v8, v7, v6
	v_fma_f32 v9, -v5, v8, v7
	v_fmac_f32_e32 v8, v9, v6
	v_fma_f32 v5, -v5, v8, v7
	v_div_fmas_f32 v5, v5, v6, v8
	v_div_fixup_f32 v6, v5, v3, -v4
	v_fma_f32 v5, v6, v6, 1.0
	v_mul_f32_e32 v7, 0x4f800000, v5
	v_cmp_gt_f32_e32 vcc, s10, v5
	v_cndmask_b32_e32 v5, v5, v7, vcc
	v_sqrt_f32_e32 v7, v5
	v_add_u32_e32 v8, -1, v7
	v_fma_f32 v9, -v8, v7, v5
	v_cmp_ge_f32_e64 s[0:1], 0, v9
	v_add_u32_e32 v9, 1, v7
	v_cndmask_b32_e64 v8, v7, v8, s[0:1]
	v_fma_f32 v7, -v9, v7, v5
	v_cmp_lt_f32_e64 s[0:1], 0, v7
	v_cndmask_b32_e64 v7, v8, v9, s[0:1]
	v_mul_f32_e32 v8, 0x37800000, v7
	v_cndmask_b32_e32 v7, v7, v8, vcc
	v_cmp_class_f32_e32 vcc, v5, v1
	v_cndmask_b32_e32 v5, v7, v5, vcc
	v_div_scale_f32 v7, s[0:1], v5, v5, 1.0
	v_rcp_f32_e32 v8, v7
	v_fma_f32 v9, -v7, v8, 1.0
	v_fmac_f32_e32 v8, v9, v8
	v_div_scale_f32 v9, vcc, 1.0, v5, 1.0
	v_mul_f32_e32 v10, v9, v8
	v_fma_f32 v11, -v7, v10, v9
	v_fmac_f32_e32 v10, v11, v8
	v_fma_f32 v7, -v7, v10, v9
	v_div_fmas_f32 v7, v7, v8, v10
	v_div_fixup_f32 v5, v7, v5, 1.0
	v_mul_f32_e32 v6, v6, v5
	s_cbranch_execz .LBB30_16
	s_branch .LBB30_17
.LBB30_13:                              ;   in Loop: Header=BB30_9 Depth=1
	v_mov_b32_e32 v6, 0
	v_mov_b32_e32 v5, 1.0
	s_branch .LBB30_19
.LBB30_14:                              ;   in Loop: Header=BB30_9 Depth=1
                                        ; implicit-def: $vgpr3
                                        ; implicit-def: $vgpr5
                                        ; implicit-def: $vgpr6
	s_cbranch_execnz .LBB30_18
	s_branch .LBB30_19
.LBB30_15:                              ;   in Loop: Header=BB30_9 Depth=1
                                        ; implicit-def: $vgpr5
                                        ; implicit-def: $vgpr6
.LBB30_16:                              ;   in Loop: Header=BB30_9 Depth=1
	v_div_scale_f32 v5, s[0:1], v4, v4, -v3
	v_rcp_f32_e32 v6, v5
	v_div_scale_f32 v7, vcc, -v3, v4, -v3
	v_fma_f32 v8, -v5, v6, 1.0
	v_fmac_f32_e32 v6, v8, v6
	v_mul_f32_e32 v8, v7, v6
	v_fma_f32 v9, -v5, v8, v7
	v_fmac_f32_e32 v8, v9, v6
	v_fma_f32 v5, -v5, v8, v7
	v_div_fmas_f32 v5, v5, v6, v8
	v_div_fixup_f32 v5, v5, v4, -v3
	v_fma_f32 v6, v5, v5, 1.0
	v_mul_f32_e32 v7, 0x4f800000, v6
	v_cmp_gt_f32_e32 vcc, s10, v6
	v_cndmask_b32_e32 v6, v6, v7, vcc
	v_sqrt_f32_e32 v7, v6
	v_add_u32_e32 v8, -1, v7
	v_fma_f32 v9, -v8, v7, v6
	v_cmp_ge_f32_e64 s[0:1], 0, v9
	v_add_u32_e32 v9, 1, v7
	v_cndmask_b32_e64 v8, v7, v8, s[0:1]
	v_fma_f32 v7, -v9, v7, v6
	v_cmp_lt_f32_e64 s[0:1], 0, v7
	v_cndmask_b32_e64 v7, v8, v9, s[0:1]
	v_mul_f32_e32 v8, 0x37800000, v7
	v_cndmask_b32_e32 v7, v7, v8, vcc
	v_cmp_class_f32_e32 vcc, v6, v1
	v_cndmask_b32_e32 v6, v7, v6, vcc
	v_div_scale_f32 v7, s[0:1], v6, v6, 1.0
	v_rcp_f32_e32 v8, v7
	v_fma_f32 v9, -v7, v8, 1.0
	v_fmac_f32_e32 v8, v9, v8
	v_div_scale_f32 v9, vcc, 1.0, v6, 1.0
	v_mul_f32_e32 v10, v9, v8
	v_fma_f32 v11, -v7, v10, v9
	v_fmac_f32_e32 v10, v11, v8
	v_fma_f32 v7, -v7, v10, v9
	v_div_fmas_f32 v7, v7, v8, v10
	v_div_fixup_f32 v6, v7, v6, 1.0
	v_mul_f32_e32 v5, v5, v6
.LBB30_17:                              ;   in Loop: Header=BB30_9 Depth=1
	v_mul_f32_e32 v7, v4, v6
	v_fma_f32 v3, v3, v5, -v7
	s_branch .LBB30_19
.LBB30_18:                              ;   in Loop: Header=BB30_9 Depth=1
	v_xor_b32_e32 v3, 0x80000000, v4
	v_mov_b32_e32 v5, 0
	v_mov_b32_e32 v6, 1.0
.LBB30_19:                              ;   in Loop: Header=BB30_9 Depth=1
	global_load_dword v7, v2, s[12:13]
	s_andn2_b64 vcc, exec, s[18:19]
	global_store_dword v2, v3, s[12:13] offset:-4
	global_load_dword v4, v2, s[30:31]
	s_waitcnt vmcnt(2)
	v_mul_f32_e64 v3, v7, -v6
	global_store_dword v2, v3, s[30:31] offset:-4
	global_load_dword v3, v2, s[12:13]
	s_cbranch_vccnz .LBB30_8
; %bb.20:                               ;   in Loop: Header=BB30_9 Depth=1
	s_add_i32 s16, s20, s27
	s_lshl_b64 s[0:1], s[16:17], 2
	s_add_u32 s0, s28, s0
	s_addc_u32 s1, s29, s1
	global_store_dword v2, v5, s[34:35]
	global_store_dword v2, v6, s[0:1]
	s_branch .LBB30_8
.LBB30_21:
	s_ashr_i32 s27, s26, 31
	s_lshl_b64 s[0:1], s[26:27], 2
	s_add_u32 s0, s14, s0
	s_addc_u32 s1, s15, s1
	v_mov_b32_e32 v1, 0
	global_store_dword v1, v3, s[0:1]
.LBB30_22:
	s_or_b64 exec, exec, s[2:3]
	v_cmp_gt_i32_e32 vcc, s21, v0
	s_barrier
	s_and_saveexec_b64 s[2:3], vcc
	s_cbranch_execz .LBB30_28
; %bb.23:
	s_load_dword s10, s[4:5], 0x8c
	s_add_i32 s28, s20, -1
	s_cmp_gt_i32 s20, 1
	s_cselect_b64 s[0:1], -1, 0
	s_mul_i32 s18, s28, s11
	s_waitcnt lgkmcnt(0)
	s_and_b32 s29, s10, 0xffff
	s_add_u32 s12, s8, 16
	s_addc_u32 s13, s23, 0
	s_ashr_i32 s19, s18, 31
	s_ashr_i32 s15, s11, 31
	s_mov_b32 s14, s11
	s_lshl_b64 s[10:11], s[14:15], 3
	s_mov_b32 s15, 0
	s_mov_b32 s14, s20
	v_cndmask_b32_e64 v2, 0, 1, s[0:1]
	s_lshl_b64 s[18:19], s[18:19], 3
	s_lshl_b64 s[14:15], s[14:15], 2
	s_mov_b64 s[16:17], 0
	v_mov_b32_e32 v1, s25
	v_cmp_ne_u32_e64 s[0:1], 1, v2
	v_mov_b32_e32 v10, 0
	v_mov_b32_e32 v11, s19
	v_mov_b32_e32 v2, v0
	s_branch .LBB30_25
.LBB30_24:                              ;   in Loop: Header=BB30_25 Depth=1
	v_add_co_u32_e32 v6, vcc, s18, v6
	v_addc_co_u32_e32 v7, vcc, v7, v11, vcc
	v_add_u32_e32 v2, s29, v2
	v_cmp_le_i32_e32 vcc, s21, v2
	s_or_b64 s[16:17], vcc, s[16:17]
	s_waitcnt vmcnt(0) lgkmcnt(0)
	flat_store_dwordx2 v[6:7], v[4:5]
	s_andn2_b64 exec, exec, s[16:17]
	s_cbranch_execz .LBB30_28
.LBB30_25:                              ; =>This Loop Header: Depth=1
                                        ;     Child Loop BB30_27 Depth 2
	v_ashrrev_i32_e32 v3, 31, v2
	v_lshlrev_b64 v[4:5], 3, v[2:3]
	v_add_co_u32_e32 v6, vcc, s24, v4
	v_addc_co_u32_e32 v7, vcc, v1, v5, vcc
	flat_load_dwordx2 v[4:5], v[6:7]
	s_and_b64 vcc, exec, s[0:1]
	s_cbranch_vccnz .LBB30_24
; %bb.26:                               ;   in Loop: Header=BB30_25 Depth=1
	s_mov_b32 s19, s28
	s_mov_b64 s[26:27], s[12:13]
	v_pk_mov_b32 v[8:9], v[6:7], v[6:7] op_sel:[0,1]
.LBB30_27:                              ;   Parent Loop BB30_25 Depth=1
                                        ; =>  This Inner Loop Header: Depth=2
	s_add_u32 s30, s26, s14
	v_mov_b32_e32 v3, s11
	v_add_co_u32_e32 v12, vcc, s10, v8
	s_addc_u32 s31, s27, s15
	v_addc_co_u32_e32 v13, vcc, v9, v3, vcc
	global_load_dword v14, v10, s[30:31]
	flat_load_dwordx2 v[16:17], v[12:13]
	global_load_dword v18, v10, s[26:27]
	s_add_u32 s26, s26, 4
	s_addc_u32 s27, s27, 0
	s_add_i32 s19, s19, -1
	s_cmp_lg_u32 s19, 0
	s_waitcnt vmcnt(0) lgkmcnt(0)
	v_mul_f32_e32 v3, v16, v14
	v_mul_f32_e32 v19, v17, v14
	v_pk_mul_f32 v[14:15], v[4:5], v[14:15] op_sel_hi:[1,0]
	v_fma_f32 v20, v4, v18, -v3
	v_fma_f32 v21, v5, v18, -v19
	v_pk_fma_f32 v[4:5], v[16:17], v[18:19], v[14:15] op_sel_hi:[1,0,1]
	flat_store_dwordx2 v[8:9], v[20:21]
	v_pk_mov_b32 v[8:9], v[12:13], v[12:13] op_sel:[0,1]
	s_cbranch_scc1 .LBB30_27
	s_branch .LBB30_24
.LBB30_28:
	s_or_b64 exec, exec, s[2:3]
	v_cmp_gt_i32_e32 vcc, s22, v0
	s_and_saveexec_b64 s[0:1], vcc
	s_cbranch_execz .LBB30_34
; %bb.29:
	s_load_dword s3, s[4:5], 0x8c
	s_add_i32 s2, s20, -1
	s_cmp_gt_i32 s20, 1
	s_cselect_b64 s[0:1], -1, 0
	s_mov_b32 s21, 0
	s_waitcnt lgkmcnt(0)
	s_and_b32 s18, s3, 0xffff
	s_add_u32 s4, s8, 16
	s_addc_u32 s5, s23, 0
	s_ashr_i32 s3, s2, 31
	v_cndmask_b32_e64 v3, 0, 1, s[0:1]
	s_lshl_b64 s[14:15], s[2:3], 3
	v_mul_lo_u32 v2, v0, s9
	s_mul_i32 s8, s9, s18
	s_lshl_b64 s[10:11], s[20:21], 2
	s_mov_b64 s[12:13], 0
	v_mov_b32_e32 v1, s7
	v_cmp_ne_u32_e64 s[0:1], 1, v3
	v_mov_b32_e32 v10, 0
	v_mov_b32_e32 v11, s15
	s_branch .LBB30_31
.LBB30_30:                              ;   in Loop: Header=BB30_31 Depth=1
	v_add_co_u32_e32 v4, vcc, s14, v4
	v_addc_co_u32_e32 v5, vcc, v5, v11, vcc
	v_add_u32_e32 v0, s18, v0
	v_cmp_le_i32_e32 vcc, s22, v0
	s_or_b64 s[12:13], vcc, s[12:13]
	v_add_u32_e32 v2, s8, v2
	s_waitcnt vmcnt(0) lgkmcnt(0)
	flat_store_dwordx2 v[4:5], v[6:7]
	s_andn2_b64 exec, exec, s[12:13]
	s_cbranch_execz .LBB30_34
.LBB30_31:                              ; =>This Loop Header: Depth=1
                                        ;     Child Loop BB30_33 Depth 2
	v_mul_lo_u32 v4, v0, s9
	v_ashrrev_i32_e32 v5, 31, v4
	v_lshlrev_b64 v[4:5], 3, v[4:5]
	v_add_co_u32_e32 v4, vcc, s6, v4
	v_addc_co_u32_e32 v5, vcc, v1, v5, vcc
	flat_load_dwordx2 v[6:7], v[4:5]
	s_and_b64 vcc, exec, s[0:1]
	s_cbranch_vccnz .LBB30_30
; %bb.32:                               ;   in Loop: Header=BB30_31 Depth=1
	v_ashrrev_i32_e32 v3, 31, v2
	v_lshlrev_b64 v[8:9], 3, v[2:3]
	v_add_co_u32_e32 v8, vcc, s6, v8
	v_addc_co_u32_e32 v9, vcc, v1, v9, vcc
	s_mov_b32 s3, s2
	s_mov_b64 s[16:17], s[4:5]
.LBB30_33:                              ;   Parent Loop BB30_31 Depth=1
                                        ; =>  This Inner Loop Header: Depth=2
	s_add_u32 s20, s16, s10
	s_addc_u32 s21, s17, s11
	flat_load_dwordx2 v[12:13], v[8:9] offset:8
	global_load_dword v14, v10, s[16:17]
	global_load_dword v16, v10, s[20:21]
	v_add_co_u32_e32 v18, vcc, 8, v8
	s_add_u32 s16, s16, 4
	v_addc_co_u32_e32 v19, vcc, 0, v9, vcc
	s_addc_u32 s17, s17, 0
	s_add_i32 s3, s3, -1
	s_cmp_lg_u32 s3, 0
	s_waitcnt vmcnt(0) lgkmcnt(0)
	v_mul_f32_e32 v3, v12, v16
	v_mul_f32_e32 v15, v13, v16
	v_pk_mul_f32 v[16:17], v[6:7], v[16:17] op_sel_hi:[1,0]
	v_fma_f32 v20, v6, v14, -v3
	v_fma_f32 v21, v7, v14, -v15
	v_pk_fma_f32 v[6:7], v[12:13], v[14:15], v[16:17] op_sel_hi:[1,0,1]
	flat_store_dwordx2 v[8:9], v[20:21]
	v_pk_mov_b32 v[8:9], v[18:19], v[18:19] op_sel:[0,1]
	s_cbranch_scc1 .LBB30_33
	s_branch .LBB30_30
.LBB30_34:
	s_endpgm
	.section	.rodata,"a",@progbits
	.p2align	6, 0x0
	.amdhsa_kernel _ZN9rocsolver6v33100L17bdsqr_lower2upperI19rocblas_complex_numIfEfPS3_S4_EEviiiPT0_lS6_lT1_iilT2_iilPiS6_lS9_
		.amdhsa_group_segment_fixed_size 0
		.amdhsa_private_segment_fixed_size 0
		.amdhsa_kernarg_size 384
		.amdhsa_user_sgpr_count 6
		.amdhsa_user_sgpr_private_segment_buffer 1
		.amdhsa_user_sgpr_dispatch_ptr 0
		.amdhsa_user_sgpr_queue_ptr 0
		.amdhsa_user_sgpr_kernarg_segment_ptr 1
		.amdhsa_user_sgpr_dispatch_id 0
		.amdhsa_user_sgpr_flat_scratch_init 0
		.amdhsa_user_sgpr_kernarg_preload_length 0
		.amdhsa_user_sgpr_kernarg_preload_offset 0
		.amdhsa_user_sgpr_private_segment_size 0
		.amdhsa_uses_dynamic_stack 0
		.amdhsa_system_sgpr_private_segment_wavefront_offset 0
		.amdhsa_system_sgpr_workgroup_id_x 1
		.amdhsa_system_sgpr_workgroup_id_y 1
		.amdhsa_system_sgpr_workgroup_id_z 0
		.amdhsa_system_sgpr_workgroup_info 0
		.amdhsa_system_vgpr_workitem_id 0
		.amdhsa_next_free_vgpr 22
		.amdhsa_next_free_sgpr 36
		.amdhsa_accum_offset 24
		.amdhsa_reserve_vcc 1
		.amdhsa_reserve_flat_scratch 0
		.amdhsa_float_round_mode_32 0
		.amdhsa_float_round_mode_16_64 0
		.amdhsa_float_denorm_mode_32 3
		.amdhsa_float_denorm_mode_16_64 3
		.amdhsa_dx10_clamp 1
		.amdhsa_ieee_mode 1
		.amdhsa_fp16_overflow 0
		.amdhsa_tg_split 0
		.amdhsa_exception_fp_ieee_invalid_op 0
		.amdhsa_exception_fp_denorm_src 0
		.amdhsa_exception_fp_ieee_div_zero 0
		.amdhsa_exception_fp_ieee_overflow 0
		.amdhsa_exception_fp_ieee_underflow 0
		.amdhsa_exception_fp_ieee_inexact 0
		.amdhsa_exception_int_div_zero 0
	.end_amdhsa_kernel
	.section	.text._ZN9rocsolver6v33100L17bdsqr_lower2upperI19rocblas_complex_numIfEfPS3_S4_EEviiiPT0_lS6_lT1_iilT2_iilPiS6_lS9_,"axG",@progbits,_ZN9rocsolver6v33100L17bdsqr_lower2upperI19rocblas_complex_numIfEfPS3_S4_EEviiiPT0_lS6_lT1_iilT2_iilPiS6_lS9_,comdat
.Lfunc_end30:
	.size	_ZN9rocsolver6v33100L17bdsqr_lower2upperI19rocblas_complex_numIfEfPS3_S4_EEviiiPT0_lS6_lT1_iilT2_iilPiS6_lS9_, .Lfunc_end30-_ZN9rocsolver6v33100L17bdsqr_lower2upperI19rocblas_complex_numIfEfPS3_S4_EEviiiPT0_lS6_lT1_iilT2_iilPiS6_lS9_
                                        ; -- End function
	.section	.AMDGPU.csdata,"",@progbits
; Kernel info:
; codeLenInByte = 1988
; NumSgprs: 40
; NumVgprs: 22
; NumAgprs: 0
; TotalNumVgprs: 22
; ScratchSize: 0
; MemoryBound: 0
; FloatMode: 240
; IeeeMode: 1
; LDSByteSize: 0 bytes/workgroup (compile time only)
; SGPRBlocks: 4
; VGPRBlocks: 2
; NumSGPRsForWavesPerEU: 40
; NumVGPRsForWavesPerEU: 22
; AccumOffset: 24
; Occupancy: 8
; WaveLimiterHint : 0
; COMPUTE_PGM_RSRC2:SCRATCH_EN: 0
; COMPUTE_PGM_RSRC2:USER_SGPR: 6
; COMPUTE_PGM_RSRC2:TRAP_HANDLER: 0
; COMPUTE_PGM_RSRC2:TGID_X_EN: 1
; COMPUTE_PGM_RSRC2:TGID_Y_EN: 1
; COMPUTE_PGM_RSRC2:TGID_Z_EN: 0
; COMPUTE_PGM_RSRC2:TIDIG_COMP_CNT: 0
; COMPUTE_PGM_RSRC3_GFX90A:ACCUM_OFFSET: 5
; COMPUTE_PGM_RSRC3_GFX90A:TG_SPLIT: 0
	.section	.text._ZN9rocsolver6v33100L13bdsqr_computeILi256E19rocblas_complex_numIfEfPS3_S4_S4_EEviiiiPT1_lS6_lT2_iilT3_iilT4_iiliS5_S5_S5_S5_PiS6_ilSA_,"axG",@progbits,_ZN9rocsolver6v33100L13bdsqr_computeILi256E19rocblas_complex_numIfEfPS3_S4_S4_EEviiiiPT1_lS6_lT2_iilT3_iilT4_iiliS5_S5_S5_S5_PiS6_ilSA_,comdat
	.globl	_ZN9rocsolver6v33100L13bdsqr_computeILi256E19rocblas_complex_numIfEfPS3_S4_S4_EEviiiiPT1_lS6_lT2_iilT3_iilT4_iiliS5_S5_S5_S5_PiS6_ilSA_ ; -- Begin function _ZN9rocsolver6v33100L13bdsqr_computeILi256E19rocblas_complex_numIfEfPS3_S4_S4_EEviiiiPT1_lS6_lT2_iilT3_iilT4_iiliS5_S5_S5_S5_PiS6_ilSA_
	.p2align	8
	.type	_ZN9rocsolver6v33100L13bdsqr_computeILi256E19rocblas_complex_numIfEfPS3_S4_S4_EEviiiiPT1_lS6_lT2_iilT3_iilT4_iiliS5_S5_S5_S5_PiS6_ilSA_,@function
_ZN9rocsolver6v33100L13bdsqr_computeILi256E19rocblas_complex_numIfEfPS3_S4_S4_EEviiiiPT1_lS6_lT2_iilT3_iilT4_iiliS5_S5_S5_S5_PiS6_ilSA_: ; @_ZN9rocsolver6v33100L13bdsqr_computeILi256E19rocblas_complex_numIfEfPS3_S4_S4_EEviiiiPT1_lS6_lT2_iilT3_iilT4_iiliS5_S5_S5_S5_PiS6_ilSA_
; %bb.0:
	s_load_dwordx4 s[0:3], s[4:5], 0xa8
	s_ashr_i32 s9, s8, 31
	s_lshl_b64 s[10:11], s[8:9], 2
	s_waitcnt lgkmcnt(0)
	s_add_u32 s2, s2, s10
	s_addc_u32 s3, s3, s11
	s_load_dword s2, s[2:3], 0x8
	s_waitcnt lgkmcnt(0)
	s_cmp_lg_u32 s2, 0
	s_cbranch_scc1 .LBB31_181
; %bb.1:
	s_load_dwordx8 s[20:27], s[4:5], 0x30
	s_mov_b64 s[34:35], 0
	s_mov_b64 s[40:41], 0
	s_waitcnt lgkmcnt(0)
	s_cmp_eq_u64 s[20:21], 0
	s_cbranch_scc1 .LBB31_3
; %bb.2:
	s_mul_i32 s6, s8, s25
	s_mul_hi_u32 s10, s8, s24
	s_add_i32 s6, s10, s6
	s_mul_i32 s10, s9, s24
	s_add_i32 s11, s6, s10
	s_mul_i32 s10, s8, s24
	s_ashr_i32 s3, s22, 31
	s_lshl_b64 s[10:11], s[10:11], 3
	s_mov_b32 s2, s22
	s_add_u32 s6, s20, s10
	s_addc_u32 s10, s21, s11
	s_lshl_b64 s[2:3], s[2:3], 3
	s_add_u32 s40, s6, s2
	s_addc_u32 s41, s10, s3
.LBB31_3:
	s_load_dwordx2 s[88:89], s[4:5], 0x50
	s_load_dwordx4 s[12:15], s[4:5], 0x58
	s_cmp_eq_u64 s[26:27], 0
	s_cbranch_scc1 .LBB31_5
; %bb.4:
	s_waitcnt lgkmcnt(0)
	s_mul_i32 s6, s8, s13
	s_mul_hi_u32 s10, s8, s12
	s_add_i32 s6, s10, s6
	s_mul_i32 s10, s9, s12
	s_add_i32 s11, s6, s10
	s_mul_i32 s10, s8, s12
	s_ashr_i32 s3, s88, 31
	s_lshl_b64 s[10:11], s[10:11], 3
	s_mov_b32 s2, s88
	s_add_u32 s6, s26, s10
	s_addc_u32 s10, s27, s11
	s_lshl_b64 s[2:3], s[2:3], 3
	s_add_u32 s34, s6, s2
	s_addc_u32 s35, s10, s3
.LBB31_5:
	s_load_dwordx2 s[42:43], s[4:5], 0x68
	s_waitcnt lgkmcnt(0)
	s_cmp_eq_u64 s[14:15], 0
	s_mov_b64 s[44:45], 0
	s_cbranch_scc1 .LBB31_7
; %bb.6:
	s_load_dwordx2 s[2:3], s[4:5], 0x70
	s_ashr_i32 s11, s42, 31
	s_mov_b32 s10, s42
	s_waitcnt lgkmcnt(0)
	s_mul_i32 s3, s8, s3
	s_mul_hi_u32 s6, s8, s2
	s_mul_i32 s12, s9, s2
	s_add_i32 s3, s6, s3
	s_add_i32 s3, s3, s12
	s_mul_i32 s2, s8, s2
	s_lshl_b64 s[2:3], s[2:3], 3
	s_add_u32 s6, s14, s2
	s_addc_u32 s12, s15, s3
	s_lshl_b64 s[2:3], s[10:11], 3
	s_add_u32 s44, s6, s2
	s_addc_u32 s45, s12, s3
.LBB31_7:
	s_load_dwordx4 s[12:15], s[4:5], 0x90
	s_mul_i32 s1, s8, s1
	s_mul_hi_u32 s2, s8, s0
	s_add_i32 s1, s2, s1
	s_mul_i32 s2, s9, s0
	s_add_i32 s1, s1, s2
	s_mul_i32 s0, s8, s0
	s_lshl_b64 s[56:57], s[0:1], 2
	s_waitcnt lgkmcnt(0)
	s_add_u32 s46, s14, s56
	s_addc_u32 s47, s15, s57
	s_load_dword s0, s[46:47], 0x8
	s_waitcnt lgkmcnt(0)
	v_cvt_i32_f32_e32 v1, s0
	v_cmp_ge_i32_e32 vcc, s7, v1
	s_cbranch_vccnz .LBB31_181
; %bb.8:
	s_load_dwordx4 s[36:39], s[4:5], 0x0
	s_load_dwordx8 s[24:31], s[4:5], 0x10
                                        ; implicit-def: $vgpr38 : SGPR spill to VGPR lane
	v_lshlrev_b32_e32 v14, 2, v0
	v_mul_lo_u32 v20, v0, s23
	v_mul_lo_u32 v22, v0, s43
	s_waitcnt lgkmcnt(0)
	s_mul_i32 s0, s8, s36
	s_lshl_b32 s0, s0, 1
	s_ashr_i32 s1, s0, 31
	s_lshl_b64 s[0:1], s[0:1], 2
	s_mul_i32 s2, s8, s27
	s_mul_hi_u32 s3, s8, s26
	s_add_u32 s6, s12, s0
	s_addc_u32 s20, s13, s1
	s_add_i32 s0, s3, s2
	s_mul_i32 s1, s9, s26
	s_add_i32 s1, s0, s1
	s_mul_i32 s0, s8, s26
	s_lshl_b64 s[0:1], s[0:1], 2
	s_add_u32 s22, s24, s0
	s_addc_u32 s33, s25, s1
	s_mul_i32 s0, s8, s31
	s_mul_hi_u32 s1, s8, s30
	s_add_i32 s0, s1, s0
	s_mul_i32 s1, s9, s30
	s_add_i32 s1, s0, s1
	s_mul_i32 s0, s8, s30
	v_writelane_b32 v38, s0, 0
	s_lshl_b64 s[10:11], s[0:1], 2
	s_add_u32 s36, s28, s10
	s_addc_u32 s42, s29, s11
	s_cmp_lg_u32 s37, 0
	s_cselect_b64 s[26:27], -1, 0
	s_or_b32 s8, s39, s38
	s_cmp_eq_u32 s8, 0
	v_writelane_b32 v38, s1, 1
	s_cselect_b64 s[8:9], -1, 0
	v_writelane_b32 v38, s8, 2
	s_cmp_lg_u64 s[40:41], 0
	v_writelane_b32 v38, s9, 3
	s_cselect_b64 s[8:9], -1, 0
	s_and_b64 s[90:91], s[26:27], s[8:9]
	s_add_u32 s50, s4, 0xb8
	s_addc_u32 s51, s5, 0
	s_cmp_lg_u64 s[34:35], 0
	s_cselect_b64 s[8:9], -1, 0
	s_cmp_lg_u32 s38, 0
	s_cselect_b64 s[12:13], -1, 0
	s_and_b64 s[86:87], s[12:13], s[8:9]
	s_cmp_lg_u64 s[44:45], 0
	s_cselect_b64 s[8:9], -1, 0
	s_cmp_lg_u32 s39, 0
	s_cselect_b64 s[12:13], -1, 0
	s_and_b64 s[8:9], s[12:13], s[8:9]
	v_writelane_b32 v38, s8, 4
	v_writelane_b32 v38, s9, 5
	v_cmp_gt_i32_e64 s[8:9], s39, v0
	v_writelane_b32 v38, s8, 6
	v_writelane_b32 v38, s9, 7
	s_add_u32 s8, s22, -4
	v_writelane_b32 v38, s8, 8
	s_addc_u32 s8, s33, -1
	s_add_u32 s9, s14, s56
	v_writelane_b32 v38, s8, 9
	s_addc_u32 s12, s15, s57
	s_load_dwordx2 s[56:57], s[4:5], 0x78
	s_load_dwordx2 s[58:59], s[4:5], 0x84
	s_load_dword s77, s[4:5], 0xa0
	s_load_dword s8, s[4:5], 0xbc
	v_writelane_b32 v38, s9, 10
	s_add_u32 s4, s9, 12
	v_writelane_b32 v38, s4, 11
	v_writelane_b32 v38, s12, 12
	s_addc_u32 s4, s12, 0
	v_writelane_b32 v38, s4, 13
	s_add_u32 s4, s28, -4
	s_addc_u32 s5, s29, -1
	v_writelane_b32 v38, s4, 14
	s_add_u32 s4, s4, s10
	v_writelane_b32 v38, s4, 15
	v_writelane_b32 v38, s5, 16
	s_addc_u32 s4, s5, s11
	v_mov_b32_e32 v2, s33
	v_add_co_u32_e32 v16, vcc, s22, v14
	v_writelane_b32 v38, s4, 17
	v_addc_co_u32_e32 v17, vcc, 0, v2, vcc
	v_writelane_b32 v38, s86, 18
	s_movk_i32 s0, 0x80
	v_cmp_gt_i32_e64 s[94:95], s38, v0
	v_mov_b32_e32 v2, s42
	v_add_co_u32_e32 v18, vcc, s36, v14
	v_writelane_b32 v38, s87, 19
	v_cmp_gt_u32_e64 s[0:1], s0, v0
	v_cmp_gt_u32_e64 s[2:3], 64, v0
	v_cmp_eq_u32_e64 s[16:17], 0, v0
	v_cmp_gt_i32_e64 s[92:93], s37, v0
	v_mov_b32_e32 v15, 0
	v_addc_co_u32_e32 v19, vcc, 0, v2, vcc
	v_add_u32_e32 v21, -1, v20
	v_add_u32_e32 v23, -1, v22
	s_mov_b32 s11, 0xf800000
	v_mov_b32_e32 v24, 0x260
	v_mov_b32_e32 v25, 1
	v_writelane_b32 v38, s94, 20
	v_writelane_b32 v38, s95, 21
	s_branch .LBB31_11
.LBB31_9:                               ;   in Loop: Header=BB31_11 Depth=1
	s_or_b64 exec, exec, s[12:13]
.LBB31_10:                              ;   in Loop: Header=BB31_11 Depth=1
	s_waitcnt lgkmcnt(0)
	s_add_i32 s7, s8, s7
	v_cmp_lt_i32_e32 vcc, s7, v1
	s_cbranch_vccz .LBB31_181
.LBB31_11:                              ; =>This Loop Header: Depth=1
                                        ;     Child Loop BB31_15 Depth 2
                                        ;     Child Loop BB31_40 Depth 2
	;; [unrolled: 1-line block ×5, first 2 shown]
                                        ;       Child Loop BB31_164 Depth 3
                                        ;     Child Loop BB31_170 Depth 2
                                        ;       Child Loop BB31_172 Depth 3
                                        ;     Child Loop BB31_178 Depth 2
                                        ;       Child Loop BB31_180 Depth 3
	s_lshl_b32 s4, s7, 2
	s_ashr_i32 s5, s4, 31
	s_lshl_b64 s[4:5], s[4:5], 2
	s_add_u32 s12, s6, s4
	s_addc_u32 s13, s20, s5
	global_load_dwordx2 v[2:3], v15, s[12:13] offset:4
	s_waitcnt vmcnt(0)
	v_readfirstlane_b32 s62, v2
	v_readfirstlane_b32 s60, v3
	s_cmp_le_i32 s60, s62
	s_cbranch_scc1 .LBB31_10
; %bb.12:                               ;   in Loop: Header=BB31_11 Depth=1
	global_load_dword v2, v15, s[12:13] offset:12
	s_waitcnt vmcnt(0) lgkmcnt(0)
	v_cmp_le_i32_e32 vcc, s56, v2
	s_cbranch_vccnz .LBB31_10
; %bb.13:                               ;   in Loop: Header=BB31_11 Depth=1
	s_sub_i32 s28, s60, s62
	s_ashr_i32 s63, s62, 31
	v_cmp_ge_i32_e32 vcc, s28, v0
	v_mov_b32_e32 v4, 0
	s_and_saveexec_b64 s[4:5], vcc
	s_cbranch_execz .LBB31_17
; %bb.14:                               ;   in Loop: Header=BB31_11 Depth=1
	s_lshl_b64 s[14:15], s[62:63], 2
	v_mov_b32_e32 v3, s15
	v_add_co_u32_e32 v2, vcc, s14, v16
	v_addc_co_u32_e32 v3, vcc, v17, v3, vcc
	s_mov_b64 s[14:15], 0
	v_mov_b32_e32 v4, 0
	v_mov_b32_e32 v5, v0
.LBB31_15:                              ;   Parent Loop BB31_11 Depth=1
                                        ; =>  This Inner Loop Header: Depth=2
	global_load_dword v6, v[2:3], off
	v_add_co_u32_e32 v2, vcc, 0x400, v2
	v_add_u32_e32 v5, 0x100, v5
	v_addc_co_u32_e32 v3, vcc, 0, v3, vcc
	v_cmp_lt_i32_e32 vcc, s28, v5
	s_or_b64 s[14:15], vcc, s[14:15]
	s_waitcnt vmcnt(0)
	v_cmp_lt_f32_e64 s[24:25], v4, |v6|
	v_cndmask_b32_e64 v4, v4, |v6|, s[24:25]
	s_andn2_b64 exec, exec, s[14:15]
	s_cbranch_execnz .LBB31_15
; %bb.16:                               ;   in Loop: Header=BB31_11 Depth=1
	s_or_b64 exec, exec, s[14:15]
.LBB31_17:                              ;   in Loop: Header=BB31_11 Depth=1
	s_or_b64 exec, exec, s[4:5]
	s_cmp_lt_i32 s28, 1
	ds_write_b32 v14, v4
	s_waitcnt lgkmcnt(0)
	s_barrier
	s_cbranch_scc1 .LBB31_38
; %bb.18:                               ;   in Loop: Header=BB31_11 Depth=1
	s_and_saveexec_b64 s[4:5], s[0:1]
	s_cbranch_execz .LBB31_22
; %bb.19:                               ;   in Loop: Header=BB31_11 Depth=1
	ds_read_b32 v2, v14 offset:512
	s_waitcnt lgkmcnt(0)
	v_cmp_lt_f32_e32 vcc, v4, v2
	s_and_saveexec_b64 s[14:15], vcc
	s_cbranch_execz .LBB31_21
; %bb.20:                               ;   in Loop: Header=BB31_11 Depth=1
	v_mov_b32_e32 v4, v2
	ds_write_b32 v14, v2
.LBB31_21:                              ;   in Loop: Header=BB31_11 Depth=1
	s_or_b64 exec, exec, s[14:15]
.LBB31_22:                              ;   in Loop: Header=BB31_11 Depth=1
	s_or_b64 exec, exec, s[4:5]
	s_waitcnt lgkmcnt(0)
	s_barrier
	s_and_saveexec_b64 s[4:5], s[2:3]
	s_cbranch_execz .LBB31_37
; %bb.23:                               ;   in Loop: Header=BB31_11 Depth=1
	ds_read_b32 v2, v14 offset:256
	s_waitcnt lgkmcnt(0)
	v_cmp_lt_f32_e32 vcc, v4, v2
	s_and_saveexec_b64 s[14:15], vcc
	s_cbranch_execz .LBB31_25
; %bb.24:                               ;   in Loop: Header=BB31_11 Depth=1
	v_mov_b32_e32 v4, v2
	ds_write_b32 v14, v2
.LBB31_25:                              ;   in Loop: Header=BB31_11 Depth=1
	s_or_b64 exec, exec, s[14:15]
	ds_read_b32 v2, v14 offset:128
	s_waitcnt lgkmcnt(0)
	v_cmp_lt_f32_e32 vcc, v4, v2
	s_and_saveexec_b64 s[14:15], vcc
	s_cbranch_execz .LBB31_27
; %bb.26:                               ;   in Loop: Header=BB31_11 Depth=1
	v_mov_b32_e32 v4, v2
	ds_write_b32 v14, v2
.LBB31_27:                              ;   in Loop: Header=BB31_11 Depth=1
	s_or_b64 exec, exec, s[14:15]
	;; [unrolled: 10-line block ×6, first 2 shown]
	ds_read_b32 v2, v14 offset:4
	s_waitcnt lgkmcnt(0)
	v_cmp_lt_f32_e32 vcc, v4, v2
	s_and_b64 exec, exec, vcc
	s_cbranch_execz .LBB31_37
; %bb.36:                               ;   in Loop: Header=BB31_11 Depth=1
	ds_write_b32 v14, v2
.LBB31_37:                              ;   in Loop: Header=BB31_11 Depth=1
	s_or_b64 exec, exec, s[4:5]
.LBB31_38:                              ;   in Loop: Header=BB31_11 Depth=1
	v_cmp_gt_i32_e32 vcc, s28, v0
	v_mov_b32_e32 v4, 0
	s_waitcnt lgkmcnt(0)
	s_barrier
	s_and_saveexec_b64 s[4:5], vcc
	s_cbranch_execz .LBB31_42
; %bb.39:                               ;   in Loop: Header=BB31_11 Depth=1
	s_lshl_b64 s[14:15], s[62:63], 2
	v_mov_b32_e32 v3, s15
	v_add_co_u32_e32 v2, vcc, s14, v18
	v_addc_co_u32_e32 v3, vcc, v19, v3, vcc
	s_mov_b64 s[14:15], 0
	v_mov_b32_e32 v4, 0
	v_mov_b32_e32 v5, v0
.LBB31_40:                              ;   Parent Loop BB31_11 Depth=1
                                        ; =>  This Inner Loop Header: Depth=2
	global_load_dword v6, v[2:3], off
	v_add_co_u32_e32 v2, vcc, 0x400, v2
	v_add_u32_e32 v5, 0x100, v5
	v_addc_co_u32_e32 v3, vcc, 0, v3, vcc
	v_cmp_le_i32_e32 vcc, s28, v5
	s_or_b64 s[14:15], vcc, s[14:15]
	s_waitcnt vmcnt(0)
	v_cmp_lt_f32_e64 s[24:25], v4, |v6|
	v_cndmask_b32_e64 v4, v4, |v6|, s[24:25]
	s_andn2_b64 exec, exec, s[14:15]
	s_cbranch_execnz .LBB31_40
; %bb.41:                               ;   in Loop: Header=BB31_11 Depth=1
	s_or_b64 exec, exec, s[14:15]
.LBB31_42:                              ;   in Loop: Header=BB31_11 Depth=1
	s_or_b64 exec, exec, s[4:5]
	s_cmp_lt_i32 s28, 2
	ds_write_b32 v14, v4 offset:4
	s_waitcnt lgkmcnt(0)
	s_barrier
	s_cbranch_scc1 .LBB31_63
; %bb.43:                               ;   in Loop: Header=BB31_11 Depth=1
	s_and_saveexec_b64 s[4:5], s[0:1]
	s_cbranch_execz .LBB31_47
; %bb.44:                               ;   in Loop: Header=BB31_11 Depth=1
	ds_read_b32 v2, v14 offset:516
	s_waitcnt lgkmcnt(0)
	v_cmp_lt_f32_e32 vcc, v4, v2
	s_and_saveexec_b64 s[14:15], vcc
	s_cbranch_execz .LBB31_46
; %bb.45:                               ;   in Loop: Header=BB31_11 Depth=1
	v_mov_b32_e32 v4, v2
	ds_write_b32 v14, v2 offset:4
.LBB31_46:                              ;   in Loop: Header=BB31_11 Depth=1
	s_or_b64 exec, exec, s[14:15]
.LBB31_47:                              ;   in Loop: Header=BB31_11 Depth=1
	s_or_b64 exec, exec, s[4:5]
	s_waitcnt lgkmcnt(0)
	s_barrier
	s_and_saveexec_b64 s[4:5], s[2:3]
	s_cbranch_execz .LBB31_62
; %bb.48:                               ;   in Loop: Header=BB31_11 Depth=1
	ds_read_b32 v2, v14 offset:260
	s_waitcnt lgkmcnt(0)
	v_cmp_lt_f32_e32 vcc, v4, v2
	s_and_saveexec_b64 s[14:15], vcc
	s_cbranch_execz .LBB31_50
; %bb.49:                               ;   in Loop: Header=BB31_11 Depth=1
	v_mov_b32_e32 v4, v2
	ds_write_b32 v14, v2 offset:4
.LBB31_50:                              ;   in Loop: Header=BB31_11 Depth=1
	s_or_b64 exec, exec, s[14:15]
	ds_read_b32 v2, v14 offset:132
	s_waitcnt lgkmcnt(0)
	v_cmp_lt_f32_e32 vcc, v4, v2
	s_and_saveexec_b64 s[14:15], vcc
	s_cbranch_execz .LBB31_52
; %bb.51:                               ;   in Loop: Header=BB31_11 Depth=1
	v_mov_b32_e32 v4, v2
	ds_write_b32 v14, v2 offset:4
.LBB31_52:                              ;   in Loop: Header=BB31_11 Depth=1
	s_or_b64 exec, exec, s[14:15]
	;; [unrolled: 10-line block ×6, first 2 shown]
	ds_read_b32 v2, v14 offset:8
	s_waitcnt lgkmcnt(0)
	v_cmp_lt_f32_e32 vcc, v4, v2
	s_and_b64 exec, exec, vcc
	s_cbranch_execz .LBB31_62
; %bb.61:                               ;   in Loop: Header=BB31_11 Depth=1
	ds_write_b32 v14, v2 offset:4
.LBB31_62:                              ;   in Loop: Header=BB31_11 Depth=1
	s_or_b64 exec, exec, s[4:5]
.LBB31_63:                              ;   in Loop: Header=BB31_11 Depth=1
	s_lshl_b64 s[64:65], s[62:63], 2
	s_add_u32 s9, s36, s64
	s_addc_u32 s10, s42, s65
	s_add_u32 s14, s22, s64
	s_addc_u32 s15, s33, s65
	s_waitcnt lgkmcnt(0)
	s_barrier
	s_and_saveexec_b64 s[66:67], s[16:17]
	s_cbranch_execz .LBB31_78
; %bb.64:                               ;   in Loop: Header=BB31_11 Depth=1
	s_ashr_i32 s61, s60, 31
	s_lshl_b64 s[4:5], s[60:61], 2
	s_add_u32 s4, s22, s4
	s_addc_u32 s5, s33, s5
	global_load_dword v3, v15, s[14:15]
	global_load_dword v4, v15, s[4:5]
	s_ashr_i32 s29, s28, 31
	s_lshl_b64 s[4:5], s[28:29], 2
	s_add_u32 s21, s14, s4
	s_addc_u32 s29, s15, s5
	s_waitcnt vmcnt(0)
	v_cmp_ge_f32_e64 s[4:5], |v3|, |v4|
	s_and_b64 s[24:25], s[4:5], exec
	s_cselect_b32 s25, s15, s29
	s_cselect_b32 s24, s14, s21
	global_load_dword v5, v15, s[24:25]
	v_cndmask_b32_e64 v2, 0, 1, s[4:5]
	ds_write_b32 v15, v2 offset:1028
	s_cmp_lt_i32 s28, 1
	s_waitcnt vmcnt(0)
	v_and_b32_e32 v2, 0x7fffffff, v5
	s_cbranch_scc1 .LBB31_71
; %bb.65:                               ;   in Loop: Header=BB31_11 Depth=1
	s_not_b32 s21, s62
	s_add_i32 s21, s21, s60
	s_mov_b32 s24, 0
	v_mov_b32_e32 v5, v2
	s_branch .LBB31_67
.LBB31_66:                              ;   in Loop: Header=BB31_67 Depth=2
	s_add_i32 s24, s24, 1
	s_and_b64 s[48:49], s[4:5], exec
	s_cselect_b32 s48, s24, s21
	s_ashr_i32 s49, s48, 31
	s_lshl_b64 s[48:49], s[48:49], 2
	s_add_u32 s48, s14, s48
	s_addc_u32 s49, s15, s49
	global_load_dword v7, v15, s[48:49]
	v_add_f32_e64 v6, v5, |v6|
	v_div_scale_f32 v8, s[48:49], v6, v6, v5
	v_rcp_f32_e32 v9, v8
	v_div_scale_f32 v10, vcc, v5, v6, v5
	s_add_i32 s21, s21, -1
	v_fma_f32 v11, -v8, v9, 1.0
	v_fmac_f32_e32 v9, v11, v9
	v_mul_f32_e32 v11, v10, v9
	v_fma_f32 v12, -v8, v11, v10
	v_fmac_f32_e32 v11, v12, v9
	v_fma_f32 v8, -v8, v11, v10
	v_div_fmas_f32 v8, v8, v9, v11
	v_div_fixup_f32 v5, v8, v6, v5
	s_cmp_eq_u32 s21, -1
	s_mov_b64 s[68:69], 0
	s_cselect_b64 s[70:71], -1, 0
	s_waitcnt vmcnt(0)
	v_mul_f32_e64 v5, v5, |v7|
	v_cmp_lt_f32_e32 vcc, v5, v2
	v_cndmask_b32_e32 v2, v2, v5, vcc
	s_andn2_b64 vcc, exec, s[70:71]
	s_cbranch_vccz .LBB31_69
.LBB31_67:                              ;   Parent Loop BB31_11 Depth=1
                                        ; =>  This Inner Loop Header: Depth=2
	s_and_b64 s[30:31], s[4:5], exec
	s_cselect_b32 s30, s24, s21
	s_ashr_i32 s31, s30, 31
	s_lshl_b64 s[30:31], s[30:31], 2
	s_add_u32 s30, s9, s30
	s_addc_u32 s31, s10, s31
	global_load_dword v6, v15, s[30:31]
	v_mul_f32_e32 v7, s58, v5
	s_waitcnt vmcnt(0)
	v_cmp_nle_f32_e64 s[48:49], |v6|, v7
	s_and_b64 vcc, exec, s[48:49]
	s_cbranch_vccnz .LBB31_66
; %bb.68:                               ;   in Loop: Header=BB31_11 Depth=1
	s_mov_b64 s[68:69], -1
                                        ; implicit-def: $vgpr5
                                        ; implicit-def: $sgpr21
                                        ; implicit-def: $sgpr24
                                        ; implicit-def: $vgpr2
.LBB31_69:                              ;   in Loop: Header=BB31_11 Depth=1
	s_and_b64 vcc, exec, s[68:69]
	s_cbranch_vccz .LBB31_71
; %bb.70:                               ;   in Loop: Header=BB31_11 Depth=1
	v_mov_b32_e32 v2, -1.0
	global_store_dword v15, v15, s[30:31]
.LBB31_71:                              ;   in Loop: Header=BB31_11 Depth=1
	v_cmp_nle_f32_e32 vcc, 0, v2
	v_and_b32_e32 v3, 0x7fffffff, v3
	v_and_b32_e32 v4, 0x7fffffff, v4
	ds_write_b32 v15, v2 offset:1032
	ds_write_b8 v15, v15 offset:1036
	s_cbranch_vccnz .LBB31_78
; %bb.72:                               ;   in Loop: Header=BB31_11 Depth=1
	ds_read_b64 v[6:7], v15
	s_mov_b64 s[30:31], -1
	s_waitcnt lgkmcnt(0)
	v_cmp_lt_f32_e32 vcc, v6, v7
	v_cndmask_b32_e32 v5, v6, v7, vcc
	v_div_scale_f32 v6, s[24:25], v5, v5, v2
	v_rcp_f32_e32 v7, v6
	v_div_scale_f32 v8, vcc, v2, v5, v2
	v_fma_f32 v9, -v6, v7, 1.0
	v_fmac_f32_e32 v7, v9, v7
	v_mul_f32_e32 v9, v8, v7
	v_fma_f32 v10, -v6, v9, v8
	v_fmac_f32_e32 v9, v10, v7
	v_fma_f32 v6, -v6, v9, v8
	v_div_fmas_f32 v6, v6, v7, v9
	v_div_fixup_f32 v5, v6, v5, v2
	v_cmp_ge_f32_e32 vcc, s59, v5
	s_cbranch_vccnz .LBB31_75
; %bb.73:                               ;   in Loop: Header=BB31_11 Depth=1
	v_cndmask_b32_e64 v3, v4, v3, s[4:5]
	v_cmp_lt_f32_e32 vcc, 0, v3
	s_mov_b64 s[30:31], 0
	s_cbranch_vccz .LBB31_75
; %bb.74:                               ;   in Loop: Header=BB31_11 Depth=1
	v_mul_f32_e32 v2, v2, v2
	v_div_scale_f32 v4, s[4:5], v3, v3, v2
	v_rcp_f32_e32 v5, v4
	v_div_scale_f32 v6, vcc, v2, v3, v2
	v_fma_f32 v7, -v4, v5, 1.0
	v_fmac_f32_e32 v5, v7, v5
	v_mul_f32_e32 v7, v6, v5
	v_fma_f32 v8, -v4, v7, v6
	v_fmac_f32_e32 v7, v8, v5
	v_fma_f32 v4, -v4, v7, v6
	v_div_fmas_f32 v4, v4, v5, v7
	v_div_fixup_f32 v2, v4, v3, v2
	v_div_scale_f32 v4, s[4:5], v3, v3, v2
	v_rcp_f32_e32 v5, v4
	v_fma_f32 v6, -v4, v5, 1.0
	v_fmac_f32_e32 v5, v6, v5
	v_div_scale_f32 v6, vcc, v2, v3, v2
	v_mul_f32_e32 v7, v6, v5
	v_fma_f32 v8, -v4, v7, v6
	v_fmac_f32_e32 v7, v8, v5
	v_fma_f32 v4, -v4, v7, v6
	v_div_fmas_f32 v4, v4, v5, v7
	v_div_fixup_f32 v2, v4, v3, v2
	v_cmp_gt_f32_e64 s[30:31], s57, v2
.LBB31_75:                              ;   in Loop: Header=BB31_11 Depth=1
	s_and_b64 vcc, exec, s[30:31]
	s_cbranch_vccz .LBB31_77
; %bb.76:                               ;   in Loop: Header=BB31_11 Depth=1
	ds_write_b32 v15, v15 offset:1032
.LBB31_77:                              ;   in Loop: Header=BB31_11 Depth=1
	ds_write_b8 v15, v25 offset:1036
.LBB31_78:                              ;   in Loop: Header=BB31_11 Depth=1
	s_or_b64 exec, exec, s[66:67]
	s_waitcnt lgkmcnt(0)
	s_barrier
	ds_read_u8 v2, v15 offset:1036
	s_mov_b64 s[4:5], -1
	s_waitcnt lgkmcnt(0)
	v_cmp_eq_u32_e32 vcc, 0, v2
	s_cbranch_vccz .LBB31_82
; %bb.79:                               ;   in Loop: Header=BB31_11 Depth=1
	s_and_saveexec_b64 s[4:5], s[16:17]
	s_cbranch_execz .LBB31_81
; %bb.80:                               ;   in Loop: Header=BB31_11 Depth=1
	global_store_dword v15, v15, s[12:13]
.LBB31_81:                              ;   in Loop: Header=BB31_11 Depth=1
	s_or_b64 exec, exec, s[4:5]
	s_mov_b64 s[4:5], 0
.LBB31_82:                              ;   in Loop: Header=BB31_11 Depth=1
	s_andn2_b64 vcc, exec, s[4:5]
	s_cbranch_vccnz .LBB31_10
; %bb.83:                               ;   in Loop: Header=BB31_11 Depth=1
	ds_read_b32 v2, v15 offset:1028
	s_waitcnt lgkmcnt(0)
	v_readfirstlane_b32 s66, v2
	s_and_saveexec_b64 s[4:5], s[16:17]
	s_cbranch_execz .LBB31_85
; %bb.84:                               ;   in Loop: Header=BB31_11 Depth=1
	s_cmp_eq_u32 s66, 0
	s_cselect_b32 s21, -1, 1
	v_mov_b32_e32 v2, s21
	global_store_dword v15, v2, s[12:13]
.LBB31_85:                              ;   in Loop: Header=BB31_11 Depth=1
	s_or_b64 exec, exec, s[4:5]
	s_add_i32 s78, s28, 1
	s_mul_i32 s68, s62, s77
	s_sub_i32 s76, 1, s66
	s_ashr_i32 s69, s68, 31
	s_sub_i32 s70, s66, s76
	s_lshl_b32 s12, s78, 1
	s_and_b64 s[4:5], s[26:27], exec
	s_cselect_b32 s29, s12, 0
	s_and_saveexec_b64 s[72:73], s[16:17]
	s_cbranch_execz .LBB31_158
; %bb.86:                               ;   in Loop: Header=BB31_11 Depth=1
	s_cmp_lg_u32 s66, 0
	s_cselect_b64 s[74:75], -1, 0
	s_and_b64 s[4:5], s[74:75], exec
	s_cselect_b32 s84, 0, s28
	s_ashr_i32 s85, s84, 31
	s_lshl_b64 s[4:5], s[84:85], 2
	s_add_u32 s14, s14, s4
	s_addc_u32 s15, s15, s5
	global_load_dword v2, v15, s[14:15]
	v_mov_b32_e32 v3, 0
	s_waitcnt vmcnt(0)
	v_cmp_eq_f32_e32 vcc, 0, v2
	s_cbranch_vccnz .LBB31_88
; %bb.87:                               ;   in Loop: Header=BB31_11 Depth=1
	ds_read_b32 v3, v15 offset:1032
	v_cmp_lt_f32_e32 vcc, 0, v2
	v_cndmask_b32_e64 v4, 0, 1, vcc
	v_cmp_gt_f32_e32 vcc, 0, v2
	v_subbrev_co_u32_e32 v4, vcc, 0, v4, vcc
	s_waitcnt lgkmcnt(0)
	v_div_scale_f32 v5, s[4:5], v2, v2, v3
	v_rcp_f32_e32 v6, v5
	v_cvt_f32_i32_e32 v4, v4
	v_sub_f32_e64 v7, |v2|, v3
	v_fma_f32 v8, -v5, v6, 1.0
	v_fmac_f32_e32 v6, v8, v6
	v_div_scale_f32 v8, vcc, v3, v2, v3
	v_mul_f32_e32 v9, v8, v6
	v_fma_f32 v10, -v5, v9, v8
	v_fmac_f32_e32 v9, v10, v6
	v_fma_f32 v5, -v5, v9, v8
	v_div_fmas_f32 v5, v5, v6, v9
	v_div_fixup_f32 v3, v5, v2, v3
	v_add_f32_e32 v3, v3, v4
	v_mul_f32_e32 v3, v7, v3
.LBB31_88:                              ;   in Loop: Header=BB31_11 Depth=1
	s_cmp_gt_i32 s28, 0
	s_cbranch_scc1 .LBB31_90
; %bb.89:                               ;   in Loop: Header=BB31_11 Depth=1
	s_add_i32 s61, s28, -1
	s_cbranch_execz .LBB31_91
	s_branch .LBB31_157
.LBB31_90:                              ;   in Loop: Header=BB31_11 Depth=1
                                        ; implicit-def: $sgpr61
.LBB31_91:                              ;   in Loop: Header=BB31_11 Depth=1
	s_ashr_i32 s67, s66, 31
	s_sub_u32 s12, 0, s66
	s_subb_u32 s13, 0, s67
	s_add_u32 s80, s84, s66
	s_addc_u32 s81, s85, s67
	s_lshl_b64 s[82:83], s[80:81], 2
	s_add_u32 s86, s9, s82
	s_addc_u32 s87, s10, s83
	global_load_dword v4, v15, s[86:87] offset:-4
	v_writelane_b32 v38, s90, 22
	v_writelane_b32 v38, s91, 23
	v_mov_b32_e32 v5, 0
	v_writelane_b32 v38, s88, 24
	v_writelane_b32 v38, s89, 25
	s_waitcnt vmcnt(0)
	v_cmp_eq_f32_e32 vcc, 0, v4
	s_cbranch_vccnz .LBB31_95
; %bb.92:                               ;   in Loop: Header=BB31_11 Depth=1
	v_cmp_eq_f32_e32 vcc, 0, v3
	v_mov_b32_e32 v6, 0
	s_cbranch_vccnz .LBB31_96
; %bb.93:                               ;   in Loop: Header=BB31_11 Depth=1
	v_cmp_gt_f32_e64 s[4:5], |v4|, |v3|
	s_and_b64 vcc, exec, s[4:5]
	s_cbranch_vccnz .LBB31_97
; %bb.94:                               ;   in Loop: Header=BB31_11 Depth=1
	v_div_scale_f32 v5, s[4:5], v3, v3, -v4
	v_rcp_f32_e32 v6, v5
	v_div_scale_f32 v7, vcc, -v4, v3, -v4
	v_fma_f32 v8, -v5, v6, 1.0
	v_fmac_f32_e32 v6, v8, v6
	v_mul_f32_e32 v8, v7, v6
	v_fma_f32 v9, -v5, v8, v7
	v_fmac_f32_e32 v8, v9, v6
	v_fma_f32 v5, -v5, v8, v7
	v_div_fmas_f32 v5, v5, v6, v8
	v_div_fixup_f32 v5, v5, v3, -v4
	v_fma_f32 v6, v5, v5, 1.0
	v_mul_f32_e32 v7, 0x4f800000, v6
	v_cmp_gt_f32_e32 vcc, s11, v6
	v_cndmask_b32_e32 v6, v6, v7, vcc
	v_sqrt_f32_e32 v7, v6
	v_add_u32_e32 v8, -1, v7
	v_fma_f32 v9, -v8, v7, v6
	v_cmp_ge_f32_e64 s[4:5], 0, v9
	v_add_u32_e32 v9, 1, v7
	v_cndmask_b32_e64 v8, v7, v8, s[4:5]
	v_fma_f32 v7, -v9, v7, v6
	v_cmp_lt_f32_e64 s[4:5], 0, v7
	v_cndmask_b32_e64 v7, v8, v9, s[4:5]
	v_mul_f32_e32 v8, 0x37800000, v7
	v_cndmask_b32_e32 v7, v7, v8, vcc
	v_cmp_class_f32_e32 vcc, v6, v24
	v_cndmask_b32_e32 v6, v7, v6, vcc
	v_div_scale_f32 v7, s[4:5], v6, v6, 1.0
	v_rcp_f32_e32 v8, v7
	s_mov_b64 s[4:5], 0
	v_fma_f32 v9, -v7, v8, 1.0
	v_fmac_f32_e32 v8, v9, v8
	v_div_scale_f32 v9, vcc, 1.0, v6, 1.0
	v_mul_f32_e32 v10, v9, v8
	v_fma_f32 v11, -v7, v10, v9
	v_fmac_f32_e32 v10, v11, v8
	v_fma_f32 v7, -v7, v10, v9
	v_div_fmas_f32 v7, v7, v8, v10
	v_div_fixup_f32 v6, v7, v6, 1.0
	v_mul_f32_e32 v5, v5, v6
	s_branch .LBB31_98
.LBB31_95:                              ;   in Loop: Header=BB31_11 Depth=1
	v_mov_b32_e32 v6, 1.0
	s_branch .LBB31_100
.LBB31_96:                              ;   in Loop: Header=BB31_11 Depth=1
	v_mov_b32_e32 v5, 1.0
	s_branch .LBB31_100
.LBB31_97:                              ;   in Loop: Header=BB31_11 Depth=1
	s_mov_b64 s[4:5], -1
                                        ; implicit-def: $vgpr6
                                        ; implicit-def: $vgpr5
.LBB31_98:                              ;   in Loop: Header=BB31_11 Depth=1
	s_andn2_b64 vcc, exec, s[4:5]
	s_cbranch_vccnz .LBB31_100
; %bb.99:                               ;   in Loop: Header=BB31_11 Depth=1
	v_div_scale_f32 v5, s[4:5], v4, v4, -v3
	v_rcp_f32_e32 v6, v5
	v_div_scale_f32 v7, vcc, -v3, v4, -v3
	v_fma_f32 v8, -v5, v6, 1.0
	v_fmac_f32_e32 v6, v8, v6
	v_mul_f32_e32 v8, v7, v6
	v_fma_f32 v9, -v5, v8, v7
	v_fmac_f32_e32 v8, v9, v6
	v_fma_f32 v5, -v5, v8, v7
	v_div_fmas_f32 v5, v5, v6, v8
	v_div_fixup_f32 v3, v5, v4, -v3
	v_fma_f32 v5, v3, v3, 1.0
	v_mul_f32_e32 v6, 0x4f800000, v5
	v_cmp_gt_f32_e32 vcc, s11, v5
	v_cndmask_b32_e32 v5, v5, v6, vcc
	v_sqrt_f32_e32 v6, v5
	v_add_u32_e32 v7, -1, v6
	v_fma_f32 v8, -v7, v6, v5
	v_cmp_ge_f32_e64 s[4:5], 0, v8
	v_add_u32_e32 v8, 1, v6
	v_cndmask_b32_e64 v7, v6, v7, s[4:5]
	v_fma_f32 v6, -v8, v6, v5
	v_cmp_lt_f32_e64 s[4:5], 0, v6
	v_cndmask_b32_e64 v6, v7, v8, s[4:5]
	v_mul_f32_e32 v7, 0x37800000, v6
	v_cndmask_b32_e32 v6, v6, v7, vcc
	v_cmp_class_f32_e32 vcc, v5, v24
	v_cndmask_b32_e32 v5, v6, v5, vcc
	v_div_scale_f32 v6, s[4:5], v5, v5, 1.0
	v_rcp_f32_e32 v7, v6
	v_fma_f32 v8, -v6, v7, 1.0
	v_fmac_f32_e32 v7, v8, v7
	v_div_scale_f32 v8, vcc, 1.0, v5, 1.0
	v_mul_f32_e32 v9, v8, v7
	v_fma_f32 v10, -v6, v9, v8
	v_fmac_f32_e32 v9, v10, v7
	v_fma_f32 v6, -v6, v9, v8
	v_div_fmas_f32 v6, v6, v7, v9
	v_div_fixup_f32 v5, v6, v5, 1.0
	v_mul_f32_e32 v6, v3, v5
.LBB31_100:                             ;   in Loop: Header=BB31_11 Depth=1
	s_lshl_b64 s[88:89], s[68:69], 2
	s_and_b64 s[4:5], s[26:27], s[74:75]
	s_add_u32 s21, s46, s88
	s_addc_u32 s24, s47, s89
	s_add_u32 s21, s21, 16
	s_addc_u32 s24, s24, 0
	s_sub_u32 s90, s66, s12
	s_subb_u32 s91, s67, s13
	v_mul_f32_e32 v3, v4, v6
	s_lshl_b64 s[12:13], s[90:91], 2
	v_fmac_f32_e32 v3, v2, v5
	s_add_u32 s94, s14, s12
	global_store_dword v15, v3, s[86:87] offset:-4
	s_addc_u32 s95, s15, s13
	global_load_dword v7, v15, s[94:95] offset:-4
	v_cndmask_b32_e64 v3, 0, 1, s[4:5]
	s_mov_b64 s[18:19], s[92:93]
	v_cmp_ne_u32_e64 s[12:13], 1, v3
	s_andn2_b64 vcc, exec, s[4:5]
	s_waitcnt vmcnt(0)
	v_mul_f32_e32 v3, v6, v7
	global_store_dword v15, v3, s[94:95] offset:-4
	s_cbranch_vccnz .LBB31_102
; %bb.101:                              ;   in Loop: Header=BB31_11 Depth=1
	s_add_u32 s4, s21, s82
	s_addc_u32 s5, s24, s83
	s_ashr_i32 s79, s78, 31
	s_lshl_b64 s[30:31], s[78:79], 2
	s_add_u32 s30, s4, s30
	s_addc_u32 s31, s5, s31
	global_store_dword v15, v6, s[4:5] offset:-4
	global_store_dword v15, v5, s[30:31] offset:-4
.LBB31_102:                             ;   in Loop: Header=BB31_11 Depth=1
	s_cmp_lg_u32 s66, 1
	s_cselect_b64 s[30:31], -1, 0
	s_cmp_eq_u32 s66, 1
	v_readlane_b32 s48, v38, 2
	s_cselect_b64 s[4:5], -1, 0
	v_readlane_b32 s49, v38, 3
	s_or_b64 s[92:93], s[48:49], s[4:5]
	s_and_b64 vcc, exec, s[92:93]
	s_cbranch_vccnz .LBB31_104
; %bb.103:                              ;   in Loop: Header=BB31_11 Depth=1
	s_ashr_i32 s5, s29, 31
	s_add_u32 s4, s80, s29
	s_addc_u32 s5, s81, s5
	s_lshl_b64 s[4:5], s[4:5], 2
	s_add_u32 s4, s21, s4
	s_addc_u32 s5, s24, s5
	s_ashr_i32 s79, s78, 31
	s_lshl_b64 s[48:49], s[78:79], 2
	s_add_u32 s48, s4, s48
	s_addc_u32 s49, s5, s49
	global_store_dword v15, v6, s[4:5] offset:-4
	global_store_dword v15, v5, s[48:49] offset:-4
.LBB31_104:                             ;   in Loop: Header=BB31_11 Depth=1
	v_mul_f32_e32 v3, v4, v5
	v_fma_f32 v3, v2, v6, -v3
	v_mul_f32_e64 v2, v7, -v5
	v_cmp_eq_f32_e32 vcc, 0, v2
	v_mov_b32_e32 v5, 0
	s_cbranch_vccnz .LBB31_108
; %bb.105:                              ;   in Loop: Header=BB31_11 Depth=1
	v_cmp_eq_f32_e32 vcc, 0, v3
	s_cbranch_vccnz .LBB31_109
; %bb.106:                              ;   in Loop: Header=BB31_11 Depth=1
	v_cmp_gt_f32_e64 s[4:5], |v2|, |v3|
	s_and_b64 vcc, exec, s[4:5]
	s_cbranch_vccnz .LBB31_110
; %bb.107:                              ;   in Loop: Header=BB31_11 Depth=1
	v_div_scale_f32 v4, s[4:5], v3, v3, -v2
	v_rcp_f32_e32 v5, v4
	v_div_scale_f32 v6, vcc, -v2, v3, -v2
	v_fma_f32 v7, -v4, v5, 1.0
	v_fmac_f32_e32 v5, v7, v5
	v_mul_f32_e32 v7, v6, v5
	v_fma_f32 v8, -v4, v7, v6
	v_fmac_f32_e32 v7, v8, v5
	v_fma_f32 v4, -v4, v7, v6
	v_div_fmas_f32 v4, v4, v5, v7
	v_div_fixup_f32 v5, v4, v3, -v2
	v_fma_f32 v4, v5, v5, 1.0
	v_mul_f32_e32 v6, 0x4f800000, v4
	v_cmp_gt_f32_e32 vcc, s11, v4
	v_cndmask_b32_e32 v4, v4, v6, vcc
	v_sqrt_f32_e32 v6, v4
	v_add_u32_e32 v7, -1, v6
	v_fma_f32 v9, -v7, v6, v4
	v_add_u32_e32 v8, 1, v6
	v_cmp_ge_f32_e64 s[4:5], 0, v9
	v_cndmask_b32_e64 v7, v6, v7, s[4:5]
	v_fma_f32 v6, -v8, v6, v4
	v_cmp_lt_f32_e64 s[4:5], 0, v6
	v_cndmask_b32_e64 v6, v7, v8, s[4:5]
	v_mul_f32_e32 v7, 0x37800000, v6
	v_cndmask_b32_e32 v6, v6, v7, vcc
	v_cmp_class_f32_e32 vcc, v4, v24
	v_cndmask_b32_e32 v4, v6, v4, vcc
	v_div_scale_f32 v6, s[4:5], v4, v4, 1.0
	v_rcp_f32_e32 v7, v6
	s_mov_b64 s[4:5], 0
	v_fma_f32 v8, -v6, v7, 1.0
	v_fmac_f32_e32 v7, v8, v7
	v_div_scale_f32 v8, vcc, 1.0, v4, 1.0
	v_mul_f32_e32 v9, v8, v7
	v_fma_f32 v10, -v6, v9, v8
	v_fmac_f32_e32 v9, v10, v7
	v_fma_f32 v6, -v6, v9, v8
	v_div_fmas_f32 v6, v6, v7, v9
	v_div_fixup_f32 v4, v6, v4, 1.0
	v_mul_f32_e32 v5, v5, v4
	s_branch .LBB31_111
.LBB31_108:                             ;   in Loop: Header=BB31_11 Depth=1
	v_mov_b32_e32 v4, 1.0
	s_branch .LBB31_115
.LBB31_109:                             ;   in Loop: Header=BB31_11 Depth=1
                                        ; implicit-def: $vgpr3
                                        ; implicit-def: $vgpr4
                                        ; implicit-def: $vgpr5
	s_cbranch_execnz .LBB31_114
	s_branch .LBB31_115
.LBB31_110:                             ;   in Loop: Header=BB31_11 Depth=1
	s_mov_b64 s[4:5], -1
                                        ; implicit-def: $vgpr4
                                        ; implicit-def: $vgpr5
.LBB31_111:                             ;   in Loop: Header=BB31_11 Depth=1
	s_andn2_b64 vcc, exec, s[4:5]
	s_cbranch_vccnz .LBB31_113
; %bb.112:                              ;   in Loop: Header=BB31_11 Depth=1
	v_div_scale_f32 v4, s[4:5], v2, v2, -v3
	v_rcp_f32_e32 v5, v4
	v_div_scale_f32 v6, vcc, -v3, v2, -v3
	v_fma_f32 v7, -v4, v5, 1.0
	v_fmac_f32_e32 v5, v7, v5
	v_mul_f32_e32 v7, v6, v5
	v_fma_f32 v8, -v4, v7, v6
	v_fmac_f32_e32 v7, v8, v5
	v_fma_f32 v4, -v4, v7, v6
	v_div_fmas_f32 v4, v4, v5, v7
	v_div_fixup_f32 v4, v4, v2, -v3
	v_fma_f32 v5, v4, v4, 1.0
	v_mul_f32_e32 v6, 0x4f800000, v5
	v_cmp_gt_f32_e32 vcc, s11, v5
	v_cndmask_b32_e32 v5, v5, v6, vcc
	v_sqrt_f32_e32 v6, v5
	v_add_u32_e32 v7, -1, v6
	v_fma_f32 v9, -v7, v6, v5
	v_add_u32_e32 v8, 1, v6
	v_cmp_ge_f32_e64 s[4:5], 0, v9
	v_cndmask_b32_e64 v7, v6, v7, s[4:5]
	v_fma_f32 v6, -v8, v6, v5
	v_cmp_lt_f32_e64 s[4:5], 0, v6
	v_cndmask_b32_e64 v6, v7, v8, s[4:5]
	v_mul_f32_e32 v7, 0x37800000, v6
	v_cndmask_b32_e32 v6, v6, v7, vcc
	v_cmp_class_f32_e32 vcc, v5, v24
	v_cndmask_b32_e32 v5, v6, v5, vcc
	v_div_scale_f32 v6, s[4:5], v5, v5, 1.0
	v_rcp_f32_e32 v7, v6
	v_fma_f32 v8, -v6, v7, 1.0
	v_fmac_f32_e32 v7, v8, v7
	v_div_scale_f32 v8, vcc, 1.0, v5, 1.0
	v_mul_f32_e32 v9, v8, v7
	v_fma_f32 v10, -v6, v9, v8
	v_fmac_f32_e32 v9, v10, v7
	v_fma_f32 v6, -v6, v9, v8
	v_div_fmas_f32 v6, v6, v7, v9
	v_div_fixup_f32 v5, v6, v5, 1.0
	v_mul_f32_e32 v4, v4, v5
.LBB31_113:                             ;   in Loop: Header=BB31_11 Depth=1
	v_mul_f32_e32 v6, v2, v5
	v_fma_f32 v3, v3, v4, -v6
	s_branch .LBB31_115
.LBB31_114:                             ;   in Loop: Header=BB31_11 Depth=1
	v_xor_b32_e32 v3, 0x80000000, v2
	v_mov_b32_e32 v4, 0
	v_mov_b32_e32 v5, 1.0
.LBB31_115:                             ;   in Loop: Header=BB31_11 Depth=1
	global_store_dword v15, v3, s[14:15]
	global_load_dword v6, v15, s[94:95] offset:-4
	s_nop 0
	global_load_dword v3, v15, s[86:87] offset:-4
	s_cmp_eq_u32 s78, 2
	s_waitcnt vmcnt(1)
	v_mul_f32_e32 v7, v4, v6
	s_waitcnt vmcnt(0)
	v_fmac_f32_e32 v7, v5, v3
	global_store_dword v15, v7, s[94:95] offset:-4
	s_cbranch_scc1 .LBB31_117
; %bb.116:                              ;   in Loop: Header=BB31_11 Depth=1
	s_ashr_i32 s71, s70, 31
	s_lshl_b64 s[4:5], s[70:71], 2
	s_add_u32 s4, s86, s4
	s_addc_u32 s5, s87, s5
	global_load_dword v7, v15, s[4:5] offset:-4
	s_waitcnt vmcnt(0)
	v_mul_f32_e64 v2, v7, -v5
	v_mul_f32_e32 v7, v4, v7
	global_store_dword v15, v7, s[4:5] offset:-4
.LBB31_117:                             ;   in Loop: Header=BB31_11 Depth=1
	s_and_b64 s[4:5], s[26:27], s[30:31]
	v_cndmask_b32_e64 v7, 0, 1, s[4:5]
	v_readlane_b32 s86, v38, 18
	v_readlane_b32 s94, v38, 20
	v_cmp_ne_u32_e64 s[14:15], 1, v7
	s_andn2_b64 vcc, exec, s[4:5]
	v_readlane_b32 s87, v38, 19
	v_readlane_b32 s95, v38, 21
	s_cbranch_vccnz .LBB31_119
; %bb.118:                              ;   in Loop: Header=BB31_11 Depth=1
	s_add_u32 s4, s21, s82
	s_addc_u32 s5, s24, s83
	s_ashr_i32 s79, s78, 31
	s_lshl_b64 s[30:31], s[78:79], 2
	s_add_u32 s30, s4, s30
	s_addc_u32 s31, s5, s31
	global_store_dword v15, v4, s[4:5] offset:-4
	global_store_dword v15, v5, s[30:31] offset:-4
.LBB31_119:                             ;   in Loop: Header=BB31_11 Depth=1
	v_readlane_b32 s30, v38, 2
	s_xor_b64 s[4:5], s[74:75], -1
	v_readlane_b32 s31, v38, 3
	s_or_b64 s[4:5], s[30:31], s[4:5]
	s_and_b64 vcc, exec, s[4:5]
	s_cbranch_vccnz .LBB31_121
; %bb.120:                              ;   in Loop: Header=BB31_11 Depth=1
	s_ashr_i32 s25, s29, 31
	s_add_u32 s30, s80, s29
	s_addc_u32 s31, s81, s25
	s_lshl_b64 s[30:31], s[30:31], 2
	s_add_u32 s30, s21, s30
	s_addc_u32 s31, s24, s31
	s_ashr_i32 s79, s78, 31
	s_lshl_b64 s[24:25], s[78:79], 2
	s_add_u32 s24, s30, s24
	s_addc_u32 s25, s31, s25
	global_store_dword v15, v4, s[30:31] offset:-4
	global_store_dword v15, v5, s[24:25] offset:-4
.LBB31_121:                             ;   in Loop: Header=BB31_11 Depth=1
	v_mul_f32_e32 v5, v5, v6
	v_fma_f32 v3, v4, v3, -v5
	s_cmp_eq_u32 s28, 1
	s_mov_b32 s61, 0
	s_cbranch_scc1 .LBB31_154
; %bb.122:                              ;   in Loop: Header=BB31_11 Depth=1
	s_xor_b64 s[80:81], s[92:93], -1
	s_xor_b64 s[82:83], s[4:5], -1
	s_add_i32 s4, s84, s70
	s_add_i32 s61, s28, -1
	s_sub_i32 s30, s84, s76
	s_ashr_i32 s21, s29, 31
	s_ashr_i32 s79, s78, 31
	s_lshl_b64 s[24:25], s[66:67], 3
	s_add_u32 s52, s24, s64
	s_addc_u32 s53, s25, s65
	s_ashr_i32 s5, s4, 31
	s_lshl_b64 s[4:5], s[4:5], 2
	v_writelane_b32 v38, s77, 26
	s_add_u32 s31, s52, s4
	s_addc_u32 s48, s53, s5
	v_readlane_b32 s49, v38, 8
	s_add_u32 s67, s49, s31
	v_readlane_b32 s31, v38, 9
	s_addc_u32 s71, s31, s48
	s_lshl_b32 s31, s66, 1
	s_add_i32 s48, s31, -2
	s_ashr_i32 s49, s48, 31
	s_lshl_b64 s[84:85], s[48:49], 2
	s_or_b32 s84, s84, 4
	s_add_u32 s4, s64, s4
	s_addc_u32 s5, s65, s5
	s_add_u32 s93, s22, s4
	s_addc_u32 s94, s33, s5
	s_add_u32 s4, s90, s29
	s_addc_u32 s5, s91, s21
	s_ashr_i32 s31, s30, 31
	s_add_u32 s4, s4, s30
	s_addc_u32 s5, s5, s31
	s_lshl_b64 s[4:5], s[4:5], 2
	s_add_u32 s21, s4, s88
	s_addc_u32 s48, s5, s89
	s_lshl_b64 s[4:5], s[78:79], 2
	s_add_u32 s49, s21, s4
	s_addc_u32 s54, s48, s5
	v_readlane_b32 s77, v38, 11
	s_add_u32 s90, s77, s49
	v_readlane_b32 s49, v38, 13
	s_addc_u32 s91, s49, s54
	s_add_u32 s95, s77, s21
	s_addc_u32 s21, s49, s48
	s_add_u32 s24, s24, s88
	s_addc_u32 s25, s25, s89
	s_lshl_b64 s[54:55], s[30:31], 2
	s_add_u32 s24, s24, s54
	s_addc_u32 s25, s25, s55
	s_add_u32 s4, s24, s4
	s_addc_u32 s5, s25, s5
	;; [unrolled: 2-line block ×4, first 2 shown]
	v_readlane_b32 s4, v38, 0
	v_readlane_b32 s5, v38, 1
	s_add_u32 s4, s4, s62
	s_addc_u32 s5, s5, s63
	s_add_u32 s4, s4, s30
	s_addc_u32 s5, s5, s31
	s_mul_i32 s49, s66, 12
	s_lshl_b64 s[4:5], s[4:5], 2
	s_mul_hi_i32 s48, s66, 12
	s_add_u32 s30, s49, s4
	s_addc_u32 s31, s48, s5
	s_ashr_i32 s77, s76, 31
	s_lshl_b64 s[4:5], s[76:77], 2
	s_sub_u32 s4, s30, s4
	s_subb_u32 s5, s31, s5
	v_readlane_b32 s30, v38, 14
	s_add_u32 s48, s30, s4
	v_readlane_b32 s4, v38, 16
	s_addc_u32 s49, s4, s5
	s_add_u32 s4, s52, s54
	s_addc_u32 s5, s53, s55
	v_readlane_b32 s30, v38, 15
	s_add_u32 s52, s30, s4
	v_readlane_b32 s4, v38, 17
	s_addc_u32 s53, s4, s5
	s_add_u32 s4, s64, s54
	s_addc_u32 s5, s65, s55
	s_add_u32 s54, s36, s4
	s_mov_b32 s92, 1
	s_addc_u32 s55, s42, s5
	s_mov_b64 s[76:77], 0
	s_branch .LBB31_124
.LBB31_123:                             ;   in Loop: Header=BB31_124 Depth=2
	s_add_i32 s92, s92, 1
	s_add_u32 s76, s76, s84
	v_mul_f32_e32 v5, v5, v6
	s_addc_u32 s77, s77, s85
	s_cmp_eq_u32 s28, s92
	v_fma_f32 v3, v4, v3, -v5
	s_cbranch_scc1 .LBB31_155
.LBB31_124:                             ;   Parent Loop BB31_11 Depth=1
                                        ; =>  This Inner Loop Header: Depth=2
	v_cmp_eq_f32_e32 vcc, 0, v2
	v_mov_b32_e32 v4, 0
	s_cbranch_vccnz .LBB31_128
; %bb.125:                              ;   in Loop: Header=BB31_124 Depth=2
	v_cmp_neq_f32_e32 vcc, 0, v3
	s_cbranch_vccz .LBB31_129
; %bb.126:                              ;   in Loop: Header=BB31_124 Depth=2
	v_cmp_ngt_f32_e64 s[4:5], |v2|, |v3|
	s_and_b64 vcc, exec, s[4:5]
	s_cbranch_vccz .LBB31_130
; %bb.127:                              ;   in Loop: Header=BB31_124 Depth=2
	v_div_scale_f32 v4, s[4:5], v3, v3, -v2
	v_rcp_f32_e32 v5, v4
	v_div_scale_f32 v6, vcc, -v2, v3, -v2
	v_fma_f32 v7, -v4, v5, 1.0
	v_fmac_f32_e32 v5, v7, v5
	v_mul_f32_e32 v7, v6, v5
	v_fma_f32 v8, -v4, v7, v6
	v_fmac_f32_e32 v7, v8, v5
	v_fma_f32 v4, -v4, v7, v6
	v_div_fmas_f32 v4, v4, v5, v7
	v_div_fixup_f32 v4, v4, v3, -v2
	v_fma_f32 v5, v4, v4, 1.0
	v_mul_f32_e32 v6, 0x4f800000, v5
	v_cmp_gt_f32_e32 vcc, s11, v5
	v_cndmask_b32_e32 v5, v5, v6, vcc
	v_sqrt_f32_e32 v6, v5
	v_add_u32_e32 v7, -1, v6
	v_fma_f32 v9, -v7, v6, v5
	v_add_u32_e32 v8, 1, v6
	v_cmp_ge_f32_e64 s[4:5], 0, v9
	v_cndmask_b32_e64 v7, v6, v7, s[4:5]
	v_fma_f32 v6, -v8, v6, v5
	v_cmp_lt_f32_e64 s[4:5], 0, v6
	v_cndmask_b32_e64 v6, v7, v8, s[4:5]
	v_mul_f32_e32 v7, 0x37800000, v6
	v_cndmask_b32_e32 v6, v6, v7, vcc
	v_cmp_class_f32_e32 vcc, v5, v24
	v_cndmask_b32_e32 v5, v6, v5, vcc
	v_div_scale_f32 v6, s[4:5], v5, v5, 1.0
	v_rcp_f32_e32 v7, v6
	v_fma_f32 v8, -v6, v7, 1.0
	v_fmac_f32_e32 v7, v8, v7
	v_div_scale_f32 v8, vcc, 1.0, v5, 1.0
	v_mul_f32_e32 v9, v8, v7
	v_fma_f32 v10, -v6, v9, v8
	v_fmac_f32_e32 v9, v10, v7
	v_fma_f32 v6, -v6, v9, v8
	v_div_fmas_f32 v6, v6, v7, v9
	v_div_fixup_f32 v5, v6, v5, 1.0
	v_mul_f32_e32 v4, v4, v5
	s_cbranch_execz .LBB31_131
	s_branch .LBB31_132
.LBB31_128:                             ;   in Loop: Header=BB31_124 Depth=2
	v_mov_b32_e32 v5, 1.0
	s_branch .LBB31_134
.LBB31_129:                             ;   in Loop: Header=BB31_124 Depth=2
                                        ; implicit-def: $vgpr3
                                        ; implicit-def: $vgpr5
                                        ; implicit-def: $vgpr4
	s_cbranch_execnz .LBB31_133
	s_branch .LBB31_134
.LBB31_130:                             ;   in Loop: Header=BB31_124 Depth=2
                                        ; implicit-def: $vgpr5
                                        ; implicit-def: $vgpr4
.LBB31_131:                             ;   in Loop: Header=BB31_124 Depth=2
	v_div_scale_f32 v4, s[4:5], v2, v2, -v3
	v_rcp_f32_e32 v5, v4
	v_div_scale_f32 v6, vcc, -v3, v2, -v3
	v_fma_f32 v7, -v4, v5, 1.0
	v_fmac_f32_e32 v5, v7, v5
	v_mul_f32_e32 v7, v6, v5
	v_fma_f32 v8, -v4, v7, v6
	v_fmac_f32_e32 v7, v8, v5
	v_fma_f32 v4, -v4, v7, v6
	v_div_fmas_f32 v4, v4, v5, v7
	v_div_fixup_f32 v5, v4, v2, -v3
	v_fma_f32 v4, v5, v5, 1.0
	v_mul_f32_e32 v6, 0x4f800000, v4
	v_cmp_gt_f32_e32 vcc, s11, v4
	v_cndmask_b32_e32 v4, v4, v6, vcc
	v_sqrt_f32_e32 v6, v4
	v_add_u32_e32 v7, -1, v6
	v_fma_f32 v9, -v7, v6, v4
	v_add_u32_e32 v8, 1, v6
	v_cmp_ge_f32_e64 s[4:5], 0, v9
	v_cndmask_b32_e64 v7, v6, v7, s[4:5]
	v_fma_f32 v6, -v8, v6, v4
	v_cmp_lt_f32_e64 s[4:5], 0, v6
	v_cndmask_b32_e64 v6, v7, v8, s[4:5]
	v_mul_f32_e32 v7, 0x37800000, v6
	v_cndmask_b32_e32 v6, v6, v7, vcc
	v_cmp_class_f32_e32 vcc, v4, v24
	v_cndmask_b32_e32 v4, v6, v4, vcc
	v_div_scale_f32 v6, s[4:5], v4, v4, 1.0
	v_rcp_f32_e32 v7, v6
	v_fma_f32 v8, -v6, v7, 1.0
	v_fmac_f32_e32 v7, v8, v7
	v_div_scale_f32 v8, vcc, 1.0, v4, 1.0
	v_mul_f32_e32 v9, v8, v7
	v_fma_f32 v10, -v6, v9, v8
	v_fmac_f32_e32 v9, v10, v7
	v_fma_f32 v6, -v6, v9, v8
	v_div_fmas_f32 v6, v6, v7, v9
	v_div_fixup_f32 v4, v6, v4, 1.0
	v_mul_f32_e32 v5, v5, v4
.LBB31_132:                             ;   in Loop: Header=BB31_124 Depth=2
	v_mul_f32_e32 v6, v2, v4
	v_fma_f32 v3, v3, v5, -v6
	s_branch .LBB31_134
.LBB31_133:                             ;   in Loop: Header=BB31_124 Depth=2
	v_xor_b32_e32 v3, 0x80000000, v2
	v_mov_b32_e32 v5, 0
	v_mov_b32_e32 v4, 1.0
.LBB31_134:                             ;   in Loop: Header=BB31_124 Depth=2
	s_add_u32 s4, s54, s76
	s_addc_u32 s5, s55, s77
	s_add_u32 s78, s93, s76
	s_addc_u32 s79, s94, s77
	s_add_u32 s30, s52, s76
	global_store_dword v15, v3, s[4:5]
	s_addc_u32 s31, s53, s77
	global_load_dword v3, v15, s[30:31]
	global_load_dword v2, v15, s[78:79]
	s_add_u32 s86, s67, s76
	s_addc_u32 s87, s71, s77
	s_and_b64 vcc, exec, s[12:13]
	s_waitcnt vmcnt(1)
	v_mul_f32_e32 v6, v5, v3
	s_waitcnt vmcnt(0)
	v_fmac_f32_e32 v6, v4, v2
	global_store_dword v15, v6, s[30:31]
	global_load_dword v6, v15, s[86:87]
	s_waitcnt vmcnt(0)
	v_mul_f32_e32 v7, v5, v6
	global_store_dword v15, v7, s[86:87]
	s_cbranch_vccnz .LBB31_136
; %bb.135:                              ;   in Loop: Header=BB31_124 Depth=2
	s_add_u32 s4, s24, s76
	s_addc_u32 s5, s25, s77
	s_add_u32 vcc_lo, s88, s76
	s_addc_u32 vcc_hi, s89, s77
	global_store_dword v15, v5, s[4:5]
	global_store_dword v15, v4, vcc
.LBB31_136:                             ;   in Loop: Header=BB31_124 Depth=2
	s_andn2_b64 vcc, exec, s[80:81]
	s_cbranch_vccnz .LBB31_138
; %bb.137:                              ;   in Loop: Header=BB31_124 Depth=2
	s_add_u32 s4, s95, s76
	s_addc_u32 s5, s21, s77
	s_add_u32 vcc_lo, s90, s76
	s_addc_u32 vcc_hi, s91, s77
	global_store_dword v15, v5, s[4:5]
	global_store_dword v15, v4, vcc
.LBB31_138:                             ;   in Loop: Header=BB31_124 Depth=2
	v_mul_f32_e32 v3, v4, v3
	v_fma_f32 v3, v5, v2, -v3
	v_mul_f32_e64 v2, v6, -v4
	v_cmp_eq_f32_e32 vcc, 0, v2
	v_mov_b32_e32 v5, 0
	s_cbranch_vccnz .LBB31_142
; %bb.139:                              ;   in Loop: Header=BB31_124 Depth=2
	v_cmp_neq_f32_e32 vcc, 0, v3
	s_cbranch_vccz .LBB31_143
; %bb.140:                              ;   in Loop: Header=BB31_124 Depth=2
	v_cmp_ngt_f32_e64 s[4:5], |v2|, |v3|
	s_and_b64 vcc, exec, s[4:5]
	s_cbranch_vccz .LBB31_144
; %bb.141:                              ;   in Loop: Header=BB31_124 Depth=2
	v_div_scale_f32 v4, s[4:5], v3, v3, -v2
	v_rcp_f32_e32 v5, v4
	v_div_scale_f32 v6, vcc, -v2, v3, -v2
	v_fma_f32 v7, -v4, v5, 1.0
	v_fmac_f32_e32 v5, v7, v5
	v_mul_f32_e32 v7, v6, v5
	v_fma_f32 v8, -v4, v7, v6
	v_fmac_f32_e32 v7, v8, v5
	v_fma_f32 v4, -v4, v7, v6
	v_div_fmas_f32 v4, v4, v5, v7
	v_div_fixup_f32 v5, v4, v3, -v2
	v_fma_f32 v4, v5, v5, 1.0
	v_mul_f32_e32 v6, 0x4f800000, v4
	v_cmp_gt_f32_e32 vcc, s11, v4
	v_cndmask_b32_e32 v4, v4, v6, vcc
	v_sqrt_f32_e32 v6, v4
	v_add_u32_e32 v7, -1, v6
	v_fma_f32 v9, -v7, v6, v4
	v_add_u32_e32 v8, 1, v6
	v_cmp_ge_f32_e64 s[4:5], 0, v9
	v_cndmask_b32_e64 v7, v6, v7, s[4:5]
	v_fma_f32 v6, -v8, v6, v4
	v_cmp_lt_f32_e64 s[4:5], 0, v6
	v_cndmask_b32_e64 v6, v7, v8, s[4:5]
	v_mul_f32_e32 v7, 0x37800000, v6
	v_cndmask_b32_e32 v6, v6, v7, vcc
	v_cmp_class_f32_e32 vcc, v4, v24
	v_cndmask_b32_e32 v4, v6, v4, vcc
	v_div_scale_f32 v6, s[4:5], v4, v4, 1.0
	v_rcp_f32_e32 v7, v6
	v_fma_f32 v8, -v6, v7, 1.0
	v_fmac_f32_e32 v7, v8, v7
	v_div_scale_f32 v8, vcc, 1.0, v4, 1.0
	v_mul_f32_e32 v9, v8, v7
	v_fma_f32 v10, -v6, v9, v8
	v_fmac_f32_e32 v9, v10, v7
	v_fma_f32 v6, -v6, v9, v8
	v_div_fmas_f32 v6, v6, v7, v9
	v_div_fixup_f32 v4, v6, v4, 1.0
	v_mul_f32_e32 v5, v5, v4
	s_cbranch_execz .LBB31_145
	s_branch .LBB31_146
.LBB31_142:                             ;   in Loop: Header=BB31_124 Depth=2
	v_mov_b32_e32 v4, 1.0
	s_branch .LBB31_148
.LBB31_143:                             ;   in Loop: Header=BB31_124 Depth=2
                                        ; implicit-def: $vgpr3
                                        ; implicit-def: $vgpr4
                                        ; implicit-def: $vgpr5
	s_cbranch_execnz .LBB31_147
	s_branch .LBB31_148
.LBB31_144:                             ;   in Loop: Header=BB31_124 Depth=2
                                        ; implicit-def: $vgpr4
                                        ; implicit-def: $vgpr5
.LBB31_145:                             ;   in Loop: Header=BB31_124 Depth=2
	v_div_scale_f32 v4, s[4:5], v2, v2, -v3
	v_rcp_f32_e32 v5, v4
	v_div_scale_f32 v6, vcc, -v3, v2, -v3
	v_fma_f32 v7, -v4, v5, 1.0
	v_fmac_f32_e32 v5, v7, v5
	v_mul_f32_e32 v7, v6, v5
	v_fma_f32 v8, -v4, v7, v6
	v_fmac_f32_e32 v7, v8, v5
	v_fma_f32 v4, -v4, v7, v6
	v_div_fmas_f32 v4, v4, v5, v7
	v_div_fixup_f32 v4, v4, v2, -v3
	v_fma_f32 v5, v4, v4, 1.0
	v_mul_f32_e32 v6, 0x4f800000, v5
	v_cmp_gt_f32_e32 vcc, s11, v5
	v_cndmask_b32_e32 v5, v5, v6, vcc
	v_sqrt_f32_e32 v6, v5
	v_add_u32_e32 v7, -1, v6
	v_fma_f32 v9, -v7, v6, v5
	v_add_u32_e32 v8, 1, v6
	v_cmp_ge_f32_e64 s[4:5], 0, v9
	v_cndmask_b32_e64 v7, v6, v7, s[4:5]
	v_fma_f32 v6, -v8, v6, v5
	v_cmp_lt_f32_e64 s[4:5], 0, v6
	v_cndmask_b32_e64 v6, v7, v8, s[4:5]
	v_mul_f32_e32 v7, 0x37800000, v6
	v_cndmask_b32_e32 v6, v6, v7, vcc
	v_cmp_class_f32_e32 vcc, v5, v24
	v_cndmask_b32_e32 v5, v6, v5, vcc
	v_div_scale_f32 v6, s[4:5], v5, v5, 1.0
	v_rcp_f32_e32 v7, v6
	v_fma_f32 v8, -v6, v7, 1.0
	v_fmac_f32_e32 v7, v8, v7
	v_div_scale_f32 v8, vcc, 1.0, v5, 1.0
	v_mul_f32_e32 v9, v8, v7
	v_fma_f32 v10, -v6, v9, v8
	v_fmac_f32_e32 v9, v10, v7
	v_fma_f32 v6, -v6, v9, v8
	v_div_fmas_f32 v6, v6, v7, v9
	v_div_fixup_f32 v5, v6, v5, 1.0
	v_mul_f32_e32 v4, v4, v5
.LBB31_146:                             ;   in Loop: Header=BB31_124 Depth=2
	v_mul_f32_e32 v6, v2, v5
	v_fma_f32 v3, v3, v4, -v6
	s_branch .LBB31_148
.LBB31_147:                             ;   in Loop: Header=BB31_124 Depth=2
	v_xor_b32_e32 v3, 0x80000000, v2
	v_mov_b32_e32 v4, 0
	v_mov_b32_e32 v5, 1.0
.LBB31_148:                             ;   in Loop: Header=BB31_124 Depth=2
	global_store_dword v15, v3, s[78:79]
	global_load_dword v6, v15, s[86:87]
	s_nop 0
	global_load_dword v3, v15, s[30:31]
	s_cmp_ge_i32 s92, s61
	s_waitcnt vmcnt(1)
	v_mul_f32_e32 v7, v4, v6
	s_waitcnt vmcnt(0)
	v_fmac_f32_e32 v7, v5, v3
	global_store_dword v15, v7, s[86:87]
	s_cbranch_scc0 .LBB31_151
; %bb.149:                              ;   in Loop: Header=BB31_124 Depth=2
	s_and_b64 vcc, exec, s[14:15]
	s_cbranch_vccz .LBB31_152
.LBB31_150:                             ;   in Loop: Header=BB31_124 Depth=2
	s_andn2_b64 vcc, exec, s[82:83]
	s_cbranch_vccnz .LBB31_123
	s_branch .LBB31_153
.LBB31_151:                             ;   in Loop: Header=BB31_124 Depth=2
	s_add_u32 s4, s48, s76
	s_addc_u32 s5, s49, s77
	global_load_dword v7, v15, s[4:5]
	s_waitcnt vmcnt(0)
	v_mul_f32_e64 v2, v7, -v5
	v_mul_f32_e32 v7, v4, v7
	global_store_dword v15, v7, s[4:5]
	s_and_b64 vcc, exec, s[14:15]
	s_cbranch_vccnz .LBB31_150
.LBB31_152:                             ;   in Loop: Header=BB31_124 Depth=2
	s_add_u32 s4, s24, s76
	s_addc_u32 s5, s25, s77
	s_add_u32 s30, s88, s76
	s_addc_u32 s31, s89, s77
	global_store_dword v15, v4, s[4:5]
	global_store_dword v15, v5, s[30:31]
	s_andn2_b64 vcc, exec, s[82:83]
	s_cbranch_vccnz .LBB31_123
.LBB31_153:                             ;   in Loop: Header=BB31_124 Depth=2
	s_add_u32 s4, s95, s76
	s_addc_u32 s5, s21, s77
	s_add_u32 s30, s90, s76
	s_addc_u32 s31, s91, s77
	global_store_dword v15, v4, s[4:5]
	global_store_dword v15, v5, s[30:31]
	s_branch .LBB31_123
.LBB31_154:                             ;   in Loop: Header=BB31_11 Depth=1
	v_readlane_b32 s90, v38, 22
	v_readlane_b32 s91, v38, 23
	s_branch .LBB31_156
.LBB31_155:                             ;   in Loop: Header=BB31_11 Depth=1
	v_readlane_b32 s90, v38, 22
	v_readlane_b32 s86, v38, 18
	;; [unrolled: 1-line block ×7, first 2 shown]
.LBB31_156:                             ;   in Loop: Header=BB31_11 Depth=1
	v_readlane_b32 s88, v38, 24
	v_readlane_b32 s89, v38, 25
	s_mov_b64 s[92:93], s[18:19]
.LBB31_157:                             ;   in Loop: Header=BB31_11 Depth=1
	s_and_b64 s[4:5], s[74:75], exec
	s_cselect_b32 s4, s61, 0
	s_ashr_i32 s5, s4, 31
	s_lshl_b64 s[4:5], s[4:5], 2
	s_add_u32 s4, s9, s4
	s_addc_u32 s5, s10, s5
	global_store_dword v15, v3, s[4:5]
.LBB31_158:                             ;   in Loop: Header=BB31_11 Depth=1
	s_or_b64 exec, exec, s[72:73]
	s_andn2_b64 vcc, exec, s[90:91]
	s_barrier
	s_cbranch_vccnz .LBB31_166
; %bb.159:                              ;   in Loop: Header=BB31_11 Depth=1
	s_mov_b32 s19, s77
	s_and_saveexec_b64 s[12:13], s[92:93]
	s_cbranch_execz .LBB31_165
; %bb.160:                              ;   in Loop: Header=BB31_11 Depth=1
	s_lshl_b64 s[4:5], s[62:63], 3
	s_add_u32 s14, s40, s4
	s_addc_u32 s15, s41, s5
	s_load_dword s5, s[50:51], 0xc
	s_add_i32 s4, s28, -1
	s_cmp_eq_u32 s66, 0
	s_cselect_b32 s9, s28, 0
	s_cselect_b32 s4, s4, 0
	s_cmp_gt_i32 s28, 0
	s_cselect_b64 s[30:31], -1, 0
	s_waitcnt lgkmcnt(0)
	s_and_b32 s10, s5, 0xffff
	s_lshl_b32 s5, s66, 1
	s_add_i32 s48, s5, -2
	s_ashr_i32 s49, s48, 31
	s_add_i32 s5, s5, s9
	s_lshl_b64 s[72:73], s[48:49], 3
	v_add_u32_e32 v4, s5, v21
	s_ashr_i32 s5, s4, 31
	s_or_b32 s72, s72, 8
	s_not_b64 s[74:75], s[48:49]
	s_or_b32 s24, s48, 1
	s_lshl_b64 s[4:5], s[4:5], 2
	s_lshl_b64 s[52:53], s[68:69], 2
	s_add_u32 s4, s4, s52
	s_addc_u32 s5, s5, s53
	v_readlane_b32 s18, v38, 10
	s_add_u32 s76, s18, s4
	v_readlane_b32 s4, v38, 12
	s_addc_u32 s77, s4, s5
	s_lshl_b64 s[78:79], s[48:49], 2
	s_ashr_i32 s61, s60, 31
	s_or_b32 s78, s78, 4
	s_lshl_b64 s[4:5], s[60:61], 2
	s_sub_u32 s4, s4, s64
	s_subb_u32 s5, s5, s65
	s_add_u32 s48, s4, 20
	v_add_u32_e32 v2, s9, v20
	s_mul_i32 s21, s23, s10
	s_mov_b32 s25, s49
	s_addc_u32 s49, s5, 0
	s_mov_b64 s[80:81], 0
	v_mov_b32_e32 v26, v0
	s_branch .LBB31_162
.LBB31_161:                             ;   in Loop: Header=BB31_162 Depth=2
	v_lshlrev_b64 v[8:9], 3, v[8:9]
	v_mov_b32_e32 v3, s15
	v_add_co_u32_e32 v8, vcc, s14, v8
	v_addc_co_u32_e32 v9, vcc, v3, v9, vcc
	v_add_u32_e32 v26, s10, v26
	v_cmp_le_i32_e32 vcc, s37, v26
	v_add_u32_e32 v2, s21, v2
	s_or_b64 s[80:81], vcc, s[80:81]
	v_add_u32_e32 v4, s21, v4
	s_waitcnt vmcnt(0) lgkmcnt(0)
	flat_store_dwordx2 v[8:9], v[6:7]
	s_andn2_b64 exec, exec, s[80:81]
	s_cbranch_execz .LBB31_165
.LBB31_162:                             ;   Parent Loop BB31_11 Depth=1
                                        ; =>  This Loop Header: Depth=2
                                        ;       Child Loop BB31_164 Depth 3
	v_mul_lo_u32 v3, v26, s23
	v_add_u32_e32 v8, s9, v3
	v_ashrrev_i32_e32 v9, 31, v8
	v_lshlrev_b64 v[6:7], 3, v[8:9]
	v_mov_b32_e32 v3, s15
	v_add_co_u32_e32 v6, vcc, s14, v6
	v_addc_co_u32_e32 v7, vcc, v3, v7, vcc
	flat_load_dwordx2 v[6:7], v[6:7]
	s_andn2_b64 vcc, exec, s[30:31]
	s_cbranch_vccnz .LBB31_161
; %bb.163:                              ;   in Loop: Header=BB31_162 Depth=2
	v_ashrrev_i32_e32 v3, 31, v2
	v_lshlrev_b64 v[10:11], 3, v[2:3]
	v_ashrrev_i32_e32 v5, 31, v4
	v_mov_b32_e32 v3, s75
	v_add_co_u32_e32 v8, vcc, s74, v4
	v_addc_co_u32_e32 v9, vcc, v3, v5, vcc
	v_lshlrev_b64 v[12:13], 3, v[4:5]
	s_mov_b64 s[82:83], s[76:77]
	s_mov_b64 s[84:85], s[14:15]
	s_mov_b32 s52, s28
.LBB31_164:                             ;   Parent Loop BB31_11 Depth=1
                                        ;     Parent Loop BB31_162 Depth=2
                                        ; =>    This Inner Loop Header: Depth=3
	v_mov_b32_e32 v3, s85
	v_add_co_u32_e32 v28, vcc, s84, v12
	s_add_u32 s4, s82, s48
	v_addc_co_u32_e32 v29, vcc, v3, v13, vcc
	s_addc_u32 s5, s83, s49
	flat_load_dwordx2 v[28:29], v[28:29]
	s_nop 0
	global_load_dword v30, v15, s[4:5]
	global_load_dword v32, v15, s[82:83] offset:16
	s_add_i32 s52, s52, -1
	v_add_co_u32_e64 v34, s[4:5], s84, v10
	s_add_u32 s84, s84, s72
	s_addc_u32 s85, s85, s73
	v_mov_b32_e32 v5, s25
	v_add_co_u32_e32 v8, vcc, s24, v8
	s_add_u32 s82, s82, s78
	v_addc_co_u32_e64 v35, s[4:5], v3, v11, s[4:5]
	v_addc_co_u32_e32 v9, vcc, v9, v5, vcc
	s_addc_u32 s83, s83, s79
	s_cmp_eq_u32 s52, 0
	s_waitcnt vmcnt(0) lgkmcnt(0)
	v_mul_f32_e32 v3, v28, v30
	v_mul_f32_e32 v5, v29, v30
	v_pk_mul_f32 v[30:31], v[6:7], v[30:31] op_sel_hi:[1,0]
	v_fma_f32 v36, v6, v32, -v3
	v_fma_f32 v37, v7, v32, -v5
	v_pk_fma_f32 v[6:7], v[28:29], v[32:33], v[30:31] op_sel_hi:[1,0,1]
	flat_store_dwordx2 v[34:35], v[36:37]
	s_cbranch_scc0 .LBB31_164
	s_branch .LBB31_161
.LBB31_165:                             ;   in Loop: Header=BB31_11 Depth=1
	s_or_b64 exec, exec, s[12:13]
	s_mov_b32 s77, s19
.LBB31_166:                             ;   in Loop: Header=BB31_11 Depth=1
	s_andn2_b64 vcc, exec, s[86:87]
	s_cbranch_vccnz .LBB31_174
; %bb.167:                              ;   in Loop: Header=BB31_11 Depth=1
	s_and_saveexec_b64 s[4:5], s[94:95]
	s_cbranch_execz .LBB31_173
; %bb.168:                              ;   in Loop: Header=BB31_11 Depth=1
	s_mul_i32 s12, s62, s89
	s_ashr_i32 s13, s12, 31
	s_lshl_b64 s[12:13], s[12:13], 3
	s_add_u32 s9, s34, s12
	s_addc_u32 s10, s35, s13
	s_add_i32 s12, s28, -1
	s_load_dword s15, s[50:51], 0xc
	s_cmp_eq_u32 s66, 0
	s_cselect_b32 s12, s12, 0
	s_cselect_b32 s52, s28, 0
	s_add_i32 s14, s12, s29
	s_cmp_gt_i32 s28, 0
	s_cselect_b64 s[12:13], -1, 0
	s_waitcnt lgkmcnt(0)
	s_and_b32 s24, s15, 0xffff
	s_ashr_i32 s15, s14, 31
	s_lshl_b64 s[30:31], s[68:69], 2
	s_lshl_b64 s[14:15], s[14:15], 2
	s_add_u32 s14, s30, s14
	s_addc_u32 s15, s31, s15
	v_readlane_b32 s18, v38, 10
	s_add_u32 s14, s18, s14
	v_readlane_b32 s18, v38, 12
	s_addc_u32 s15, s18, s15
	s_lshl_b32 s53, s66, 1
	s_add_i32 s30, s53, -2
	s_ashr_i32 s31, s30, 31
	s_lshl_b64 s[30:31], s[30:31], 2
	s_ashr_i32 s61, s60, 31
	s_or_b32 s30, s30, 4
	s_lshl_b64 s[48:49], s[60:61], 2
	s_sub_u32 s25, s48, s64
	s_subb_u32 s48, s49, s65
	s_add_u32 s25, s25, 20
	s_mul_i32 s21, s52, s89
	s_addc_u32 s48, s48, 0
	s_add_i32 s52, s52, s53
	s_add_i32 s52, s52, -1
	s_mul_i32 s52, s89, s52
	v_add_u32_e32 v6, s21, v0
	s_mul_i32 s49, s89, s70
	v_add_u32_e32 v7, s52, v0
	s_mov_b64 s[70:71], 0
	v_mov_b32_e32 v8, v0
	s_branch .LBB31_170
.LBB31_169:                             ;   in Loop: Header=BB31_170 Depth=2
	v_lshlrev_b64 v[4:5], 3, v[4:5]
	v_mov_b32_e32 v9, s10
	v_add_co_u32_e32 v4, vcc, s9, v4
	v_addc_co_u32_e32 v5, vcc, v9, v5, vcc
	v_add_u32_e32 v8, s24, v8
	v_cmp_le_i32_e32 vcc, s38, v8
	v_add_u32_e32 v6, s24, v6
	s_or_b64 s[70:71], vcc, s[70:71]
	v_add_u32_e32 v7, s24, v7
	s_waitcnt vmcnt(0) lgkmcnt(0)
	flat_store_dwordx2 v[4:5], v[2:3]
	s_andn2_b64 exec, exec, s[70:71]
	s_cbranch_execz .LBB31_173
.LBB31_170:                             ;   Parent Loop BB31_11 Depth=1
                                        ; =>  This Loop Header: Depth=2
                                        ;       Child Loop BB31_172 Depth 3
	v_add_u32_e32 v4, s21, v8
	v_ashrrev_i32_e32 v5, 31, v4
	v_lshlrev_b64 v[2:3], 3, v[4:5]
	v_mov_b32_e32 v9, s10
	v_add_co_u32_e32 v2, vcc, s9, v2
	v_addc_co_u32_e32 v3, vcc, v9, v3, vcc
	flat_load_dwordx2 v[2:3], v[2:3]
	s_andn2_b64 vcc, exec, s[12:13]
	s_cbranch_vccnz .LBB31_169
; %bb.171:                              ;   in Loop: Header=BB31_170 Depth=2
	s_mov_b32 s52, 0
	s_mov_b64 s[72:73], s[14:15]
	s_mov_b32 s53, s28
.LBB31_172:                             ;   Parent Loop BB31_11 Depth=1
                                        ;     Parent Loop BB31_170 Depth=2
                                        ; =>    This Inner Loop Header: Depth=3
	v_add_u32_e32 v4, s52, v7
	v_ashrrev_i32_e32 v5, 31, v4
	v_lshlrev_b64 v[12:13], 3, v[4:5]
	v_mov_b32_e32 v9, s10
	s_add_u32 s54, s72, s25
	v_add_co_u32_e32 v12, vcc, s9, v12
	s_addc_u32 s55, s73, s48
	v_addc_co_u32_e32 v13, vcc, v9, v13, vcc
	global_load_dword v10, v15, s[72:73] offset:16
	global_load_dword v26, v15, s[54:55]
	v_add_u32_e32 v28, s52, v6
	flat_load_dwordx2 v[12:13], v[12:13]
	v_ashrrev_i32_e32 v29, 31, v28
	s_add_i32 s53, s53, -1
	v_lshlrev_b64 v[28:29], 3, v[28:29]
	s_add_u32 s72, s72, s30
	v_add_co_u32_e32 v28, vcc, s9, v28
	v_addc_co_u32_e32 v29, vcc, v9, v29, vcc
	s_addc_u32 s73, s73, s31
	s_add_i32 s52, s52, s49
	s_cmp_eq_u32 s53, 0
	s_waitcnt vmcnt(0) lgkmcnt(0)
	v_pk_mul_f32 v[30:31], v[2:3], v[26:27] op_sel_hi:[1,0]
	v_mul_f32_e32 v9, v12, v26
	v_mul_f32_e32 v11, v13, v26
	v_fma_f32 v26, v2, v10, -v9
	v_fma_f32 v27, v3, v10, -v11
	v_pk_fma_f32 v[2:3], v[12:13], v[10:11], v[30:31] op_sel_hi:[1,0,1]
	flat_store_dwordx2 v[28:29], v[26:27]
	s_cbranch_scc0 .LBB31_172
	s_branch .LBB31_169
.LBB31_173:                             ;   in Loop: Header=BB31_11 Depth=1
	s_or_b64 exec, exec, s[4:5]
.LBB31_174:                             ;   in Loop: Header=BB31_11 Depth=1
	v_readlane_b32 s4, v38, 4
	v_readlane_b32 s5, v38, 5
	s_andn2_b64 vcc, exec, s[4:5]
	s_cbranch_vccnz .LBB31_10
; %bb.175:                              ;   in Loop: Header=BB31_11 Depth=1
	s_mov_b64 s[12:13], exec
	v_readlane_b32 s4, v38, 6
	v_readlane_b32 s5, v38, 7
	s_and_b64 s[4:5], s[12:13], s[4:5]
	s_mov_b64 exec, s[4:5]
	s_cbranch_execz .LBB31_9
; %bb.176:                              ;   in Loop: Header=BB31_11 Depth=1
	s_lshl_b64 s[4:5], s[62:63], 3
	s_add_u32 s14, s44, s4
	s_addc_u32 s15, s45, s5
	s_add_i32 s4, s28, -1
	s_load_dword s5, s[50:51], 0xc
	s_cmp_eq_u32 s66, 0
	s_cselect_b32 s4, s4, 0
	s_cselect_b32 s9, s28, 0
	s_add_i32 s4, s4, s29
	s_cmp_gt_i32 s28, 0
	s_cselect_b64 s[30:31], -1, 0
	s_waitcnt lgkmcnt(0)
	s_and_b32 s10, s5, 0xffff
	s_ashr_i32 s5, s4, 31
	s_lshl_b64 s[24:25], s[68:69], 2
	s_lshl_b64 s[4:5], s[4:5], 2
	s_add_u32 s4, s24, s4
	s_addc_u32 s5, s25, s5
	v_readlane_b32 s18, v38, 10
	s_add_u32 s62, s18, s4
	v_readlane_b32 s4, v38, 12
	s_addc_u32 s63, s4, s5
	s_lshl_b32 s25, s66, 1
	s_add_i32 s66, s25, -2
	s_ashr_i32 s67, s66, 31
	s_lshl_b64 s[68:69], s[66:67], 2
	s_ashr_i32 s61, s60, 31
	s_or_b32 s68, s68, 4
	s_lshl_b64 s[4:5], s[60:61], 2
	s_sub_u32 s4, s4, s64
	s_subb_u32 s5, s5, s65
	s_add_u32 s21, s4, 20
	s_addc_u32 s24, s5, 0
	s_add_i32 s25, s25, s9
	s_lshl_b64 s[60:61], s[66:67], 3
	v_add_u32_e32 v2, s25, v23
	s_mul_i32 s25, s43, s10
	s_or_b32 s60, s60, 8
	v_add_u32_e32 v4, s9, v22
	s_not_b64 s[64:65], s[66:67]
	s_or_b32 s66, s66, 1
	s_mov_b64 s[70:71], 0
	v_mov_b32_e32 v26, v0
	s_branch .LBB31_178
.LBB31_177:                             ;   in Loop: Header=BB31_178 Depth=2
	v_lshlrev_b64 v[8:9], 3, v[8:9]
	v_mov_b32_e32 v3, s15
	v_add_co_u32_e32 v8, vcc, s14, v8
	v_addc_co_u32_e32 v9, vcc, v3, v9, vcc
	v_add_u32_e32 v26, s10, v26
	v_cmp_le_i32_e32 vcc, s39, v26
	v_add_u32_e32 v2, s25, v2
	s_or_b64 s[70:71], vcc, s[70:71]
	v_add_u32_e32 v4, s25, v4
	s_waitcnt vmcnt(0) lgkmcnt(0)
	flat_store_dwordx2 v[8:9], v[6:7]
	s_andn2_b64 exec, exec, s[70:71]
	s_cbranch_execz .LBB31_9
.LBB31_178:                             ;   Parent Loop BB31_11 Depth=1
                                        ; =>  This Loop Header: Depth=2
                                        ;       Child Loop BB31_180 Depth 3
	v_mul_lo_u32 v3, v26, s43
	v_add_u32_e32 v8, s9, v3
	v_ashrrev_i32_e32 v9, 31, v8
	v_lshlrev_b64 v[6:7], 3, v[8:9]
	v_mov_b32_e32 v3, s15
	v_add_co_u32_e32 v6, vcc, s14, v6
	v_addc_co_u32_e32 v7, vcc, v3, v7, vcc
	flat_load_dwordx2 v[6:7], v[6:7]
	s_andn2_b64 vcc, exec, s[30:31]
	s_cbranch_vccnz .LBB31_177
; %bb.179:                              ;   in Loop: Header=BB31_178 Depth=2
	v_ashrrev_i32_e32 v5, 31, v4
	v_ashrrev_i32_e32 v3, 31, v2
	v_lshlrev_b64 v[12:13], 3, v[4:5]
	v_mov_b32_e32 v5, s65
	v_add_co_u32_e32 v8, vcc, s64, v2
	v_lshlrev_b64 v[10:11], 3, v[2:3]
	v_addc_co_u32_e32 v9, vcc, v5, v3, vcc
	s_mov_b64 s[72:73], s[14:15]
	s_mov_b64 s[74:75], s[62:63]
	s_mov_b32 s29, s28
.LBB31_180:                             ;   Parent Loop BB31_11 Depth=1
                                        ;     Parent Loop BB31_178 Depth=2
                                        ; =>    This Inner Loop Header: Depth=3
	v_mov_b32_e32 v3, s73
	s_add_u32 s4, s74, s21
	v_add_co_u32_e32 v30, vcc, s72, v10
	v_addc_co_u32_e32 v31, vcc, v3, v11, vcc
	s_addc_u32 s5, s75, s24
	global_load_dword v28, v15, s[74:75] offset:16
	global_load_dword v32, v15, s[4:5]
	s_nop 0
	flat_load_dwordx2 v[30:31], v[30:31]
	s_add_i32 s29, s29, -1
	s_add_u32 s74, s74, s68
	s_addc_u32 s75, s75, s69
	v_mov_b32_e32 v5, s67
	v_add_co_u32_e32 v8, vcc, s66, v8
	v_add_co_u32_e64 v34, s[4:5], s72, v12
	s_add_u32 s72, s72, s60
	v_addc_co_u32_e64 v35, s[4:5], v3, v13, s[4:5]
	v_addc_co_u32_e32 v9, vcc, v9, v5, vcc
	s_addc_u32 s73, s73, s61
	s_cmp_eq_u32 s29, 0
	s_waitcnt vmcnt(0) lgkmcnt(0)
	v_mul_f32_e32 v3, v30, v32
	v_mul_f32_e32 v5, v31, v32
	v_pk_mul_f32 v[32:33], v[6:7], v[32:33] op_sel_hi:[1,0]
	v_fma_f32 v36, v6, v28, -v3
	v_fma_f32 v37, v7, v28, -v5
	v_pk_fma_f32 v[6:7], v[30:31], v[28:29], v[32:33] op_sel_hi:[1,0,1]
	flat_store_dwordx2 v[34:35], v[36:37]
	s_cbranch_scc0 .LBB31_180
	s_branch .LBB31_177
.LBB31_181:
	s_endpgm
	.section	.rodata,"a",@progbits
	.p2align	6, 0x0
	.amdhsa_kernel _ZN9rocsolver6v33100L13bdsqr_computeILi256E19rocblas_complex_numIfEfPS3_S4_S4_EEviiiiPT1_lS6_lT2_iilT3_iilT4_iiliS5_S5_S5_S5_PiS6_ilSA_
		.amdhsa_group_segment_fixed_size 1040
		.amdhsa_private_segment_fixed_size 0
		.amdhsa_kernarg_size 440
		.amdhsa_user_sgpr_count 6
		.amdhsa_user_sgpr_private_segment_buffer 1
		.amdhsa_user_sgpr_dispatch_ptr 0
		.amdhsa_user_sgpr_queue_ptr 0
		.amdhsa_user_sgpr_kernarg_segment_ptr 1
		.amdhsa_user_sgpr_dispatch_id 0
		.amdhsa_user_sgpr_flat_scratch_init 0
		.amdhsa_user_sgpr_kernarg_preload_length 0
		.amdhsa_user_sgpr_kernarg_preload_offset 0
		.amdhsa_user_sgpr_private_segment_size 0
		.amdhsa_uses_dynamic_stack 0
		.amdhsa_system_sgpr_private_segment_wavefront_offset 0
		.amdhsa_system_sgpr_workgroup_id_x 1
		.amdhsa_system_sgpr_workgroup_id_y 1
		.amdhsa_system_sgpr_workgroup_id_z 1
		.amdhsa_system_sgpr_workgroup_info 0
		.amdhsa_system_vgpr_workitem_id 0
		.amdhsa_next_free_vgpr 39
		.amdhsa_next_free_sgpr 96
		.amdhsa_accum_offset 40
		.amdhsa_reserve_vcc 1
		.amdhsa_reserve_flat_scratch 0
		.amdhsa_float_round_mode_32 0
		.amdhsa_float_round_mode_16_64 0
		.amdhsa_float_denorm_mode_32 3
		.amdhsa_float_denorm_mode_16_64 3
		.amdhsa_dx10_clamp 1
		.amdhsa_ieee_mode 1
		.amdhsa_fp16_overflow 0
		.amdhsa_tg_split 0
		.amdhsa_exception_fp_ieee_invalid_op 0
		.amdhsa_exception_fp_denorm_src 0
		.amdhsa_exception_fp_ieee_div_zero 0
		.amdhsa_exception_fp_ieee_overflow 0
		.amdhsa_exception_fp_ieee_underflow 0
		.amdhsa_exception_fp_ieee_inexact 0
		.amdhsa_exception_int_div_zero 0
	.end_amdhsa_kernel
	.section	.text._ZN9rocsolver6v33100L13bdsqr_computeILi256E19rocblas_complex_numIfEfPS3_S4_S4_EEviiiiPT1_lS6_lT2_iilT3_iilT4_iiliS5_S5_S5_S5_PiS6_ilSA_,"axG",@progbits,_ZN9rocsolver6v33100L13bdsqr_computeILi256E19rocblas_complex_numIfEfPS3_S4_S4_EEviiiiPT1_lS6_lT2_iilT3_iilT4_iiliS5_S5_S5_S5_PiS6_ilSA_,comdat
.Lfunc_end31:
	.size	_ZN9rocsolver6v33100L13bdsqr_computeILi256E19rocblas_complex_numIfEfPS3_S4_S4_EEviiiiPT1_lS6_lT2_iilT3_iilT4_iiliS5_S5_S5_S5_PiS6_ilSA_, .Lfunc_end31-_ZN9rocsolver6v33100L13bdsqr_computeILi256E19rocblas_complex_numIfEfPS3_S4_S4_EEviiiiPT1_lS6_lT2_iilT3_iilT4_iiliS5_S5_S5_S5_PiS6_ilSA_
                                        ; -- End function
	.section	.AMDGPU.csdata,"",@progbits
; Kernel info:
; codeLenInByte = 8772
; NumSgprs: 100
; NumVgprs: 39
; NumAgprs: 0
; TotalNumVgprs: 39
; ScratchSize: 0
; MemoryBound: 0
; FloatMode: 240
; IeeeMode: 1
; LDSByteSize: 1040 bytes/workgroup (compile time only)
; SGPRBlocks: 12
; VGPRBlocks: 4
; NumSGPRsForWavesPerEU: 100
; NumVGPRsForWavesPerEU: 39
; AccumOffset: 40
; Occupancy: 8
; WaveLimiterHint : 1
; COMPUTE_PGM_RSRC2:SCRATCH_EN: 0
; COMPUTE_PGM_RSRC2:USER_SGPR: 6
; COMPUTE_PGM_RSRC2:TRAP_HANDLER: 0
; COMPUTE_PGM_RSRC2:TGID_X_EN: 1
; COMPUTE_PGM_RSRC2:TGID_Y_EN: 1
; COMPUTE_PGM_RSRC2:TGID_Z_EN: 1
; COMPUTE_PGM_RSRC2:TIDIG_COMP_CNT: 0
; COMPUTE_PGM_RSRC3_GFX90A:ACCUM_OFFSET: 9
; COMPUTE_PGM_RSRC3_GFX90A:TG_SPLIT: 0
	.section	.text._ZN9rocsolver6v33100L12bdsqr_rotateI19rocblas_complex_numIfEfPS3_S4_S4_EEviiiiT1_iilT2_iilT3_iiliPiPT0_ilS8_,"axG",@progbits,_ZN9rocsolver6v33100L12bdsqr_rotateI19rocblas_complex_numIfEfPS3_S4_S4_EEviiiiT1_iilT2_iilT3_iiliPiPT0_ilS8_,comdat
	.globl	_ZN9rocsolver6v33100L12bdsqr_rotateI19rocblas_complex_numIfEfPS3_S4_S4_EEviiiiT1_iilT2_iilT3_iiliPiPT0_ilS8_ ; -- Begin function _ZN9rocsolver6v33100L12bdsqr_rotateI19rocblas_complex_numIfEfPS3_S4_S4_EEviiiiT1_iilT2_iilT3_iiliPiPT0_ilS8_
	.p2align	8
	.type	_ZN9rocsolver6v33100L12bdsqr_rotateI19rocblas_complex_numIfEfPS3_S4_S4_EEviiiiT1_iilT2_iilT3_iiliPiPT0_ilS8_,@function
_ZN9rocsolver6v33100L12bdsqr_rotateI19rocblas_complex_numIfEfPS3_S4_S4_EEviiiiT1_iilT2_iilT3_iiliPiPT0_ilS8_: ; @_ZN9rocsolver6v33100L12bdsqr_rotateI19rocblas_complex_numIfEfPS3_S4_S4_EEviiiiT1_iilT2_iilT3_iiliPiPT0_ilS8_
; %bb.0:
	s_load_dwordx4 s[0:3], s[4:5], 0x78
	s_ashr_i32 s9, s8, 31
	s_lshl_b64 s[10:11], s[8:9], 2
	s_waitcnt lgkmcnt(0)
	s_add_u32 s2, s2, s10
	s_addc_u32 s3, s3, s11
	s_load_dword s2, s[2:3], 0x8
	s_waitcnt lgkmcnt(0)
	s_cmp_lg_u32 s2, 0
	s_cbranch_scc1 .LBB32_25
; %bb.1:
	s_load_dwordx8 s[12:19], s[4:5], 0x10
	s_add_u32 s24, s4, 0x88
	s_addc_u32 s25, s5, 0
	s_mov_b64 s[2:3], 0
	s_mov_b64 s[10:11], 0
	s_waitcnt lgkmcnt(0)
	s_cmp_eq_u64 s[12:13], 0
	s_cbranch_scc1 .LBB32_3
; %bb.2:
	s_ashr_i32 s11, s14, 31
	s_mov_b32 s10, s14
	s_mul_i32 s14, s8, s17
	s_mul_hi_u32 s17, s8, s16
	s_add_i32 s14, s17, s14
	s_mul_i32 s17, s9, s16
	s_add_i32 s17, s14, s17
	s_mul_i32 s16, s8, s16
	s_lshl_b64 s[16:17], s[16:17], 3
	s_add_u32 s12, s12, s16
	s_addc_u32 s13, s13, s17
	s_lshl_b64 s[10:11], s[10:11], 3
	s_add_u32 s10, s12, s10
	s_addc_u32 s11, s13, s11
.LBB32_3:
	s_load_dwordx2 s[12:13], s[4:5], 0x30
	s_load_dwordx4 s[20:23], s[4:5], 0x38
	s_cmp_eq_u64 s[18:19], 0
	s_cbranch_scc1 .LBB32_5
; %bb.4:
	s_waitcnt lgkmcnt(0)
	s_ashr_i32 s3, s12, 31
	s_mov_b32 s2, s12
	s_mul_i32 s12, s8, s21
	s_mul_hi_u32 s14, s8, s20
	s_add_i32 s12, s14, s12
	s_mul_i32 s14, s9, s20
	s_add_i32 s17, s12, s14
	s_mul_i32 s16, s8, s20
	s_lshl_b64 s[16:17], s[16:17], 3
	s_add_u32 s12, s18, s16
	s_addc_u32 s14, s19, s17
	s_lshl_b64 s[2:3], s[2:3], 3
	s_add_u32 s2, s12, s2
	s_addc_u32 s3, s14, s3
.LBB32_5:
	s_load_dwordx2 s[26:27], s[4:5], 0x48
	s_waitcnt lgkmcnt(0)
	s_cmp_eq_u64 s[22:23], 0
	s_mov_b64 s[20:21], 0
	s_cbranch_scc1 .LBB32_7
; %bb.6:
	s_load_dwordx2 s[16:17], s[4:5], 0x50
	s_ashr_i32 s19, s26, 31
	s_mov_b32 s18, s26
	s_waitcnt lgkmcnt(0)
	s_mul_i32 s12, s8, s17
	s_mul_hi_u32 s14, s8, s16
	s_mul_i32 s17, s9, s16
	s_add_i32 s12, s14, s12
	s_add_i32 s17, s12, s17
	s_mul_i32 s16, s8, s16
	s_lshl_b64 s[16:17], s[16:17], 3
	s_add_u32 s12, s22, s16
	s_addc_u32 s14, s23, s17
	s_lshl_b64 s[16:17], s[18:19], 3
	s_add_u32 s20, s12, s16
	s_addc_u32 s21, s14, s17
.LBB32_7:
	s_load_dwordx4 s[16:19], s[4:5], 0x60
	s_mul_i32 s1, s8, s1
	s_mul_hi_u32 s12, s8, s0
	s_add_i32 s1, s12, s1
	s_mul_i32 s9, s9, s0
	s_add_i32 s1, s1, s9
	s_mul_i32 s0, s8, s0
	s_lshl_b64 s[22:23], s[0:1], 2
	s_waitcnt lgkmcnt(0)
	s_add_u32 s0, s18, s22
	s_addc_u32 s1, s19, s23
	s_load_dword s0, s[0:1], 0x8
	s_waitcnt lgkmcnt(0)
	v_cvt_i32_f32_e32 v6, s0
	v_cmp_ge_i32_e32 vcc, s7, v6
	s_cbranch_vccnz .LBB32_25
; %bb.8:
	s_load_dwordx4 s[28:31], s[4:5], 0x0
	s_load_dword s12, s[4:5], 0x58
	s_load_dword s9, s[4:5], 0x94
	;; [unrolled: 1-line block ×3, first 2 shown]
	v_mov_b32_e32 v10, 0
	s_waitcnt lgkmcnt(0)
	s_mul_i32 s0, s8, s28
	s_lshl_b32 s0, s0, 1
	s_ashr_i32 s1, s0, 31
	s_lshl_b64 s[0:1], s[0:1], 2
	s_add_u32 s40, s16, s0
	s_addc_u32 s41, s17, s1
	s_and_b32 s0, 0xffff, s9
	s_mul_i32 s6, s6, s0
	s_cmp_eq_u32 s29, 0
	v_add_u32_e32 v7, s6, v0
	s_cselect_b64 s[0:1], -1, 0
	s_cmp_lg_u64 s[10:11], 0
	s_cselect_b64 s[4:5], -1, 0
	v_cmp_gt_i32_e32 vcc, s29, v7
	s_and_b64 s[4:5], vcc, s[4:5]
	s_cmp_lg_u64 s[2:3], 0
	s_cselect_b64 s[8:9], -1, 0
	v_cmp_gt_i32_e32 vcc, s30, v7
	s_and_b64 s[8:9], vcc, s[8:9]
	s_cmp_lg_u64 s[20:21], 0
	s_load_dword s6, s[24:25], 0x4
	v_mul_lo_u32 v8, v7, s15
	s_cselect_b64 s[14:15], -1, 0
	v_cmp_gt_i32_e32 vcc, s31, v7
	s_and_b64 s[14:15], vcc, s[14:15]
	s_add_u32 s42, s18, s22
	v_mul_lo_u32 v9, v7, s27
	s_addc_u32 s43, s19, s23
	s_branch .LBB32_12
.LBB32_9:                               ;   in Loop: Header=BB32_12 Depth=1
	v_mov_b32_e32 v2, s27
	v_subrev_co_u32_e32 v3, vcc, s26, v4
	v_subb_co_u32_e32 v4, vcc, v5, v2, vcc
	v_mov_b32_e32 v5, s19
	v_add_co_u32_e32 v2, vcc, s18, v3
	v_addc_co_u32_e32 v3, vcc, v5, v4, vcc
	flat_store_dwordx2 v[2:3], v[0:1]
.LBB32_10:                              ;   in Loop: Header=BB32_12 Depth=1
	s_or_b64 exec, exec, s[28:29]
.LBB32_11:                              ;   in Loop: Header=BB32_12 Depth=1
	s_add_i32 s7, s6, s7
	v_cmp_lt_i32_e32 vcc, s7, v6
	s_cbranch_vccz .LBB32_25
.LBB32_12:                              ; =>This Loop Header: Depth=1
                                        ;     Child Loop BB32_16 Depth 2
                                        ;     Child Loop BB32_20 Depth 2
	;; [unrolled: 1-line block ×3, first 2 shown]
	s_lshl_b32 s16, s7, 2
	s_ashr_i32 s17, s16, 31
	s_lshl_b64 s[16:17], s[16:17], 2
	s_add_u32 s16, s40, s16
	s_addc_u32 s17, s41, s17
	s_load_dwordx2 s[18:19], s[16:17], 0x0
	s_load_dword s24, s[16:17], 0x8
	s_waitcnt lgkmcnt(0)
	s_cmp_le_i32 s24, s19
	s_cbranch_scc1 .LBB32_11
; %bb.13:                               ;   in Loop: Header=BB32_12 Depth=1
	s_load_dword s16, s[16:17], 0xc
	s_waitcnt lgkmcnt(0)
	s_cmp_lt_i32 s16, s12
	s_cselect_b64 s[16:17], -1, 0
	s_cmp_lg_u32 s18, 0
	s_cselect_b64 s[22:23], -1, 0
	s_and_b64 s[16:17], s[16:17], s[22:23]
	s_andn2_b64 vcc, exec, s[16:17]
	s_cbranch_vccnz .LBB32_11
; %bb.14:                               ;   in Loop: Header=BB32_12 Depth=1
	s_mul_i32 s22, s19, s33
	s_ashr_i32 s23, s22, 31
	s_cmp_gt_i32 s18, 0
	s_cselect_b64 s[26:27], -1, 0
	s_sub_i32 s16, s24, s19
	s_and_saveexec_b64 s[28:29], s[4:5]
	s_cbranch_execz .LBB32_18
; %bb.15:                               ;   in Loop: Header=BB32_12 Depth=1
	s_and_b64 s[30:31], s[26:27], exec
	s_cselect_b32 s17, s19, s24
	v_add_u32_e32 v4, s17, v8
	v_ashrrev_i32_e32 v5, 31, v4
	v_lshlrev_b64 v[2:3], 3, v[4:5]
	v_mov_b32_e32 v1, s11
	v_add_co_u32_e32 v0, vcc, s10, v2
	v_addc_co_u32_e32 v1, vcc, v1, v3, vcc
	flat_load_dwordx2 v[0:1], v[0:1]
	s_add_i32 s17, s16, -1
	s_and_b64 s[30:31], s[26:27], exec
	s_cselect_b32 s34, 0, s17
	s_ashr_i32 s37, s18, 31
	s_mov_b32 s36, s18
	s_ashr_i32 s35, s34, 31
	s_lshl_b64 s[30:31], s[36:37], 3
	s_lshl_b64 s[34:35], s[34:35], 2
	;; [unrolled: 1-line block ×3, first 2 shown]
	s_add_u32 s17, s34, s38
	s_addc_u32 s25, s35, s39
	s_add_u32 s34, s42, s17
	s_addc_u32 s35, s43, s25
	s_ashr_i32 s25, s24, 31
	s_ashr_i32 s45, s19, 31
	s_mov_b32 s44, s19
	s_lshl_b64 s[36:37], s[36:37], 2
	s_lshl_b64 s[38:39], s[24:25], 2
	;; [unrolled: 1-line block ×3, first 2 shown]
	s_sub_u32 s17, s38, s44
	v_add_u32_e32 v4, s18, v4
	s_subb_u32 s25, s39, s45
	v_ashrrev_i32_e32 v5, 31, v4
	s_add_u32 s17, s17, 20
	v_lshlrev_b64 v[4:5], 3, v[4:5]
	s_addc_u32 s25, s25, 0
	s_mov_b32 s44, s16
	s_mov_b64 s[38:39], s[10:11]
.LBB32_16:                              ;   Parent Loop BB32_12 Depth=1
                                        ; =>  This Inner Loop Header: Depth=2
	v_mov_b32_e32 v11, s39
	s_add_u32 s46, s34, s17
	v_add_co_u32_e32 v14, vcc, s38, v4
	v_addc_co_u32_e32 v15, vcc, v11, v5, vcc
	s_addc_u32 s47, s35, s25
	global_load_dword v12, v10, s[34:35] offset:16
	global_load_dword v16, v10, s[46:47]
	s_nop 0
	flat_load_dwordx2 v[14:15], v[14:15]
	v_add_co_u32_e32 v18, vcc, s38, v2
	s_add_u32 s38, s38, s30
	s_addc_u32 s39, s39, s31
	s_add_u32 s34, s34, s36
	v_addc_co_u32_e32 v19, vcc, v11, v3, vcc
	s_addc_u32 s35, s35, s37
	s_add_i32 s44, s44, -1
	s_cmp_eq_u32 s44, 0
	s_waitcnt vmcnt(0) lgkmcnt(0)
	v_mul_f32_e32 v11, v14, v16
	v_mul_f32_e32 v13, v15, v16
	v_pk_mul_f32 v[16:17], v[0:1], v[16:17] op_sel_hi:[1,0]
	v_fma_f32 v20, v0, v12, -v11
	v_fma_f32 v21, v1, v12, -v13
	v_pk_fma_f32 v[0:1], v[14:15], v[12:13], v[16:17] op_sel_hi:[1,0,1]
	flat_store_dwordx2 v[18:19], v[20:21]
	s_cbranch_scc0 .LBB32_16
; %bb.17:                               ;   in Loop: Header=BB32_12 Depth=1
	v_mov_b32_e32 v2, s31
	v_subrev_co_u32_e32 v3, vcc, s30, v4
	v_subb_co_u32_e32 v4, vcc, v5, v2, vcc
	v_mov_b32_e32 v5, s39
	v_add_co_u32_e32 v2, vcc, s38, v3
	v_addc_co_u32_e32 v3, vcc, v5, v4, vcc
	flat_store_dwordx2 v[2:3], v[0:1]
.LBB32_18:                              ;   in Loop: Header=BB32_12 Depth=1
	s_or_b64 exec, exec, s[28:29]
	s_lshl_b32 s17, s16, 1
	s_add_i32 s17, s17, 2
	s_and_b64 s[28:29], s[0:1], exec
	s_cselect_b32 s25, 0, s17
	s_and_saveexec_b64 s[28:29], s[8:9]
	s_cbranch_execz .LBB32_22
; %bb.19:                               ;   in Loop: Header=BB32_12 Depth=1
	s_and_b64 s[30:31], s[26:27], exec
	s_cselect_b32 s34, s19, s24
	s_mul_i32 s36, s34, s13
	v_add_u32_e32 v0, s36, v7
	v_ashrrev_i32_e32 v1, 31, v0
	v_lshlrev_b64 v[0:1], 3, v[0:1]
	v_mov_b32_e32 v2, s3
	v_add_co_u32_e32 v0, vcc, s2, v0
	v_addc_co_u32_e32 v1, vcc, v2, v1, vcc
	flat_load_dwordx2 v[0:1], v[0:1]
	s_add_i32 s17, s16, -1
	s_and_b64 s[30:31], s[26:27], exec
	s_cselect_b32 s17, 0, s17
	s_add_i32 s30, s25, s17
	s_add_i32 s34, s34, s18
	s_ashr_i32 s31, s30, 31
	s_ashr_i32 s17, s16, 31
	s_mul_i32 s37, s13, s34
	s_lshl_b64 s[34:35], s[22:23], 2
	s_lshl_b64 s[30:31], s[30:31], 2
	s_add_u32 s30, s34, s30
	s_addc_u32 s31, s35, s31
	s_add_u32 s30, s42, s30
	s_addc_u32 s31, s43, s31
	s_ashr_i32 s35, s18, 31
	s_mov_b32 s34, s18
	s_lshl_b64 s[34:35], s[34:35], 2
	s_lshl_b64 s[44:45], s[16:17], 2
	s_add_u32 s17, s44, 20
	s_mul_i32 s38, s13, s18
	s_addc_u32 s39, s45, 0
	s_mov_b32 s44, s16
	v_mov_b32_e32 v4, v7
.LBB32_20:                              ;   Parent Loop BB32_12 Depth=1
                                        ; =>  This Inner Loop Header: Depth=2
	v_add_u32_e32 v2, s37, v4
	v_ashrrev_i32_e32 v3, 31, v2
	v_lshlrev_b64 v[2:3], 3, v[2:3]
	v_mov_b32_e32 v5, s3
	s_add_u32 s46, s30, s17
	v_add_co_u32_e32 v2, vcc, s2, v2
	s_addc_u32 s47, s31, s39
	v_addc_co_u32_e32 v3, vcc, v5, v3, vcc
	global_load_dword v12, v10, s[30:31] offset:16
	global_load_dword v14, v10, s[46:47]
	flat_load_dwordx2 v[16:17], v[2:3]
	v_add_u32_e32 v18, s36, v4
	v_ashrrev_i32_e32 v19, 31, v18
	v_lshlrev_b64 v[18:19], 3, v[18:19]
	s_add_u32 s30, s30, s34
	v_add_co_u32_e32 v18, vcc, s2, v18
	v_addc_co_u32_e32 v19, vcc, v5, v19, vcc
	s_addc_u32 s31, s31, s35
	s_add_i32 s44, s44, -1
	v_add_u32_e32 v4, s38, v4
	s_cmp_eq_u32 s44, 0
	s_waitcnt vmcnt(0) lgkmcnt(0)
	v_pk_mul_f32 v[20:21], v[0:1], v[14:15] op_sel_hi:[1,0]
	v_mul_f32_e32 v5, v16, v14
	v_mul_f32_e32 v11, v17, v14
	v_fma_f32 v14, v0, v12, -v5
	v_fma_f32 v15, v1, v12, -v11
	v_pk_fma_f32 v[0:1], v[16:17], v[12:13], v[20:21] op_sel_hi:[1,0,1]
	flat_store_dwordx2 v[18:19], v[14:15]
	s_cbranch_scc0 .LBB32_20
; %bb.21:                               ;   in Loop: Header=BB32_12 Depth=1
	flat_store_dwordx2 v[2:3], v[0:1]
.LBB32_22:                              ;   in Loop: Header=BB32_12 Depth=1
	s_or_b64 exec, exec, s[28:29]
	s_and_saveexec_b64 s[28:29], s[14:15]
	s_cbranch_execz .LBB32_10
; %bb.23:                               ;   in Loop: Header=BB32_12 Depth=1
	s_and_b64 s[30:31], s[26:27], exec
	s_cselect_b32 s17, s19, s24
	v_add_u32_e32 v4, s17, v9
	v_ashrrev_i32_e32 v5, 31, v4
	v_lshlrev_b64 v[2:3], 3, v[4:5]
	v_mov_b32_e32 v1, s21
	v_add_co_u32_e32 v0, vcc, s20, v2
	v_addc_co_u32_e32 v1, vcc, v1, v3, vcc
	flat_load_dwordx2 v[0:1], v[0:1]
	s_add_i32 s17, s16, -1
	s_and_b64 s[26:27], s[26:27], exec
	s_cselect_b32 s17, 0, s17
	s_add_i32 s24, s25, s17
	s_ashr_i32 s25, s24, 31
	s_ashr_i32 s17, s16, 31
	s_lshl_b64 s[22:23], s[22:23], 2
	s_lshl_b64 s[24:25], s[24:25], 2
	s_add_u32 s19, s22, s24
	s_addc_u32 s23, s23, s25
	s_add_u32 s22, s42, s19
	s_addc_u32 s23, s43, s23
	s_ashr_i32 s19, s18, 31
	s_lshl_b64 s[24:25], s[18:19], 2
	s_lshl_b64 s[26:27], s[16:17], 2
	v_add_u32_e32 v4, s18, v4
	s_add_u32 s17, s26, 20
	v_ashrrev_i32_e32 v5, 31, v4
	s_addc_u32 s30, s27, 0
	v_lshlrev_b64 v[4:5], 3, v[4:5]
	s_lshl_b64 s[26:27], s[18:19], 3
	s_mov_b64 s[18:19], s[20:21]
.LBB32_24:                              ;   Parent Loop BB32_12 Depth=1
                                        ; =>  This Inner Loop Header: Depth=2
	s_add_u32 s34, s22, s17
	v_mov_b32_e32 v11, s19
	v_add_co_u32_e32 v14, vcc, s18, v4
	s_addc_u32 s35, s23, s30
	global_load_dword v12, v10, s[22:23] offset:16
	v_addc_co_u32_e32 v15, vcc, v11, v5, vcc
	global_load_dword v16, v10, s[34:35]
	flat_load_dwordx2 v[18:19], v[14:15]
	s_add_i32 s16, s16, -1
	s_add_u32 s22, s22, s24
	s_addc_u32 s23, s23, s25
	v_add_co_u32_e32 v14, vcc, s18, v2
	s_add_u32 s18, s18, s26
	v_addc_co_u32_e32 v15, vcc, v11, v3, vcc
	s_addc_u32 s19, s19, s27
	s_cmp_eq_u32 s16, 0
	s_waitcnt vmcnt(0) lgkmcnt(0)
	v_mul_f32_e32 v11, v18, v16
	v_mul_f32_e32 v13, v19, v16
	v_pk_mul_f32 v[16:17], v[0:1], v[16:17] op_sel_hi:[1,0]
	v_fma_f32 v20, v0, v12, -v11
	v_fma_f32 v21, v1, v12, -v13
	v_pk_fma_f32 v[0:1], v[18:19], v[12:13], v[16:17] op_sel_hi:[1,0,1]
	flat_store_dwordx2 v[14:15], v[20:21]
	s_cbranch_scc0 .LBB32_24
	s_branch .LBB32_9
.LBB32_25:
	s_endpgm
	.section	.rodata,"a",@progbits
	.p2align	6, 0x0
	.amdhsa_kernel _ZN9rocsolver6v33100L12bdsqr_rotateI19rocblas_complex_numIfEfPS3_S4_S4_EEviiiiT1_iilT2_iilT3_iiliPiPT0_ilS8_
		.amdhsa_group_segment_fixed_size 0
		.amdhsa_private_segment_fixed_size 0
		.amdhsa_kernarg_size 392
		.amdhsa_user_sgpr_count 6
		.amdhsa_user_sgpr_private_segment_buffer 1
		.amdhsa_user_sgpr_dispatch_ptr 0
		.amdhsa_user_sgpr_queue_ptr 0
		.amdhsa_user_sgpr_kernarg_segment_ptr 1
		.amdhsa_user_sgpr_dispatch_id 0
		.amdhsa_user_sgpr_flat_scratch_init 0
		.amdhsa_user_sgpr_kernarg_preload_length 0
		.amdhsa_user_sgpr_kernarg_preload_offset 0
		.amdhsa_user_sgpr_private_segment_size 0
		.amdhsa_uses_dynamic_stack 0
		.amdhsa_system_sgpr_private_segment_wavefront_offset 0
		.amdhsa_system_sgpr_workgroup_id_x 1
		.amdhsa_system_sgpr_workgroup_id_y 1
		.amdhsa_system_sgpr_workgroup_id_z 1
		.amdhsa_system_sgpr_workgroup_info 0
		.amdhsa_system_vgpr_workitem_id 0
		.amdhsa_next_free_vgpr 22
		.amdhsa_next_free_sgpr 48
		.amdhsa_accum_offset 24
		.amdhsa_reserve_vcc 1
		.amdhsa_reserve_flat_scratch 0
		.amdhsa_float_round_mode_32 0
		.amdhsa_float_round_mode_16_64 0
		.amdhsa_float_denorm_mode_32 3
		.amdhsa_float_denorm_mode_16_64 3
		.amdhsa_dx10_clamp 1
		.amdhsa_ieee_mode 1
		.amdhsa_fp16_overflow 0
		.amdhsa_tg_split 0
		.amdhsa_exception_fp_ieee_invalid_op 0
		.amdhsa_exception_fp_denorm_src 0
		.amdhsa_exception_fp_ieee_div_zero 0
		.amdhsa_exception_fp_ieee_overflow 0
		.amdhsa_exception_fp_ieee_underflow 0
		.amdhsa_exception_fp_ieee_inexact 0
		.amdhsa_exception_int_div_zero 0
	.end_amdhsa_kernel
	.section	.text._ZN9rocsolver6v33100L12bdsqr_rotateI19rocblas_complex_numIfEfPS3_S4_S4_EEviiiiT1_iilT2_iilT3_iiliPiPT0_ilS8_,"axG",@progbits,_ZN9rocsolver6v33100L12bdsqr_rotateI19rocblas_complex_numIfEfPS3_S4_S4_EEviiiiT1_iilT2_iilT3_iiliPiPT0_ilS8_,comdat
.Lfunc_end32:
	.size	_ZN9rocsolver6v33100L12bdsqr_rotateI19rocblas_complex_numIfEfPS3_S4_S4_EEviiiiT1_iilT2_iilT3_iiliPiPT0_ilS8_, .Lfunc_end32-_ZN9rocsolver6v33100L12bdsqr_rotateI19rocblas_complex_numIfEfPS3_S4_S4_EEviiiiT1_iilT2_iilT3_iiliPiPT0_ilS8_
                                        ; -- End function
	.section	.AMDGPU.csdata,"",@progbits
; Kernel info:
; codeLenInByte = 1680
; NumSgprs: 52
; NumVgprs: 22
; NumAgprs: 0
; TotalNumVgprs: 22
; ScratchSize: 0
; MemoryBound: 0
; FloatMode: 240
; IeeeMode: 1
; LDSByteSize: 0 bytes/workgroup (compile time only)
; SGPRBlocks: 6
; VGPRBlocks: 2
; NumSGPRsForWavesPerEU: 52
; NumVGPRsForWavesPerEU: 22
; AccumOffset: 24
; Occupancy: 8
; WaveLimiterHint : 1
; COMPUTE_PGM_RSRC2:SCRATCH_EN: 0
; COMPUTE_PGM_RSRC2:USER_SGPR: 6
; COMPUTE_PGM_RSRC2:TRAP_HANDLER: 0
; COMPUTE_PGM_RSRC2:TGID_X_EN: 1
; COMPUTE_PGM_RSRC2:TGID_Y_EN: 1
; COMPUTE_PGM_RSRC2:TGID_Z_EN: 1
; COMPUTE_PGM_RSRC2:TIDIG_COMP_CNT: 0
; COMPUTE_PGM_RSRC3_GFX90A:ACCUM_OFFSET: 5
; COMPUTE_PGM_RSRC3_GFX90A:TG_SPLIT: 0
	.section	.text._ZN9rocsolver6v33100L22bdsqr_update_endpointsI19rocblas_complex_numIfEfEEviPT0_lPiS5_lS6_,"axG",@progbits,_ZN9rocsolver6v33100L22bdsqr_update_endpointsI19rocblas_complex_numIfEfEEviPT0_lPiS5_lS6_,comdat
	.globl	_ZN9rocsolver6v33100L22bdsqr_update_endpointsI19rocblas_complex_numIfEfEEviPT0_lPiS5_lS6_ ; -- Begin function _ZN9rocsolver6v33100L22bdsqr_update_endpointsI19rocblas_complex_numIfEfEEviPT0_lPiS5_lS6_
	.p2align	8
	.type	_ZN9rocsolver6v33100L22bdsqr_update_endpointsI19rocblas_complex_numIfEfEEviPT0_lPiS5_lS6_,@function
_ZN9rocsolver6v33100L22bdsqr_update_endpointsI19rocblas_complex_numIfEfEEviPT0_lPiS5_lS6_: ; @_ZN9rocsolver6v33100L22bdsqr_update_endpointsI19rocblas_complex_numIfEfEEviPT0_lPiS5_lS6_
; %bb.0:
	s_load_dwordx4 s[0:3], s[4:5], 0x28
	s_ashr_i32 s9, s8, 31
	s_lshl_b64 s[10:11], s[8:9], 2
	s_waitcnt lgkmcnt(0)
	s_add_u32 s2, s2, s10
	s_addc_u32 s3, s3, s11
	s_load_dword s2, s[2:3], 0x8
	s_waitcnt lgkmcnt(0)
	s_cmp_lg_u32 s2, 0
	s_cbranch_scc1 .LBB33_31
; %bb.1:
	s_load_dwordx8 s[12:19], s[4:5], 0x8
	s_mul_i32 s1, s8, s1
	s_mul_hi_u32 s2, s8, s0
	s_add_i32 s1, s2, s1
	s_mul_i32 s2, s9, s0
	s_add_i32 s1, s1, s2
	s_mul_i32 s0, s8, s0
	s_lshl_b64 s[0:1], s[0:1], 2
	s_waitcnt lgkmcnt(0)
	s_add_u32 s2, s18, s0
	s_addc_u32 s3, s19, s1
	s_load_dwordx2 s[10:11], s[2:3], 0x4
	s_waitcnt lgkmcnt(0)
	v_cvt_i32_f32_e32 v4, s11
	v_cmp_ge_i32_e32 vcc, s7, v4
	s_cbranch_vccnz .LBB33_31
; %bb.2:
	s_mul_i32 s0, s8, s15
	s_mul_hi_u32 s1, s8, s14
	s_add_i32 s0, s1, s0
	s_mul_i32 s1, s9, s14
	s_load_dword s9, s[4:5], 0x0
	s_load_dword s18, s[4:5], 0x3c
	s_add_i32 s1, s0, s1
	s_mul_i32 s0, s8, s14
	s_lshl_b64 s[0:1], s[0:1], 2
	s_add_u32 s6, s12, s0
	s_waitcnt lgkmcnt(0)
	s_mul_i32 s0, s8, s9
	s_addc_u32 s11, s13, s1
	s_lshl_b32 s0, s0, 1
	s_ashr_i32 s1, s0, 31
	s_lshl_b64 s[0:1], s[0:1], 2
	s_add_u32 s19, s16, s0
	v_cvt_f32_i32_e32 v5, v4
	s_addc_u32 s20, s17, s1
	s_add_u32 s21, s6, -4
	s_addc_u32 s22, s11, -1
	v_mov_b32_e32 v6, 0
	s_branch .LBB33_4
.LBB33_3:                               ;   in Loop: Header=BB33_4 Depth=1
	s_add_i32 s7, s18, s7
	v_cmp_lt_i32_e32 vcc, s7, v4
	v_mov_b32_e32 v0, s23
	v_mov_b32_e32 v1, s16
	global_store_dwordx2 v6, v[0:1], s[4:5] offset:4
	s_cbranch_vccz .LBB33_31
.LBB33_4:                               ; =>This Loop Header: Depth=1
                                        ;     Child Loop BB33_9 Depth 2
                                        ;     Child Loop BB33_14 Depth 2
	;; [unrolled: 1-line block ×3, first 2 shown]
                                        ;       Child Loop BB33_26 Depth 3
	s_lshl_b32 s0, s7, 2
	s_ashr_i32 s1, s0, 31
	s_lshl_b64 s[0:1], s[0:1], 2
	s_add_u32 s4, s19, s0
	s_addc_u32 s5, s20, s1
	global_load_dwordx4 v[0:3], v6, s[4:5]
	s_waitcnt vmcnt(0)
	v_readfirstlane_b32 s0, v0
	s_cmp_eq_u32 s0, 0
	s_cselect_b64 s[0:1], -1, 0
	v_readfirstlane_b32 s12, v1
	v_readfirstlane_b32 s8, v2
	s_and_b64 vcc, exec, s[0:1]
	v_mov_b32_e32 v2, v3
	s_cbranch_vccnz .LBB33_6
; %bb.5:                                ;   in Loop: Header=BB33_4 Depth=1
	s_sub_i32 s9, s8, s12
	v_add_u32_e32 v2, s9, v3
	global_store_dword v6, v2, s[4:5] offset:12
.LBB33_6:                               ;   in Loop: Header=BB33_4 Depth=1
	s_cmp_le_i32 s8, s12
	s_cbranch_scc1 .LBB33_16
; %bb.7:                                ;   in Loop: Header=BB33_4 Depth=1
	s_ashr_i32 s13, s12, 31
	s_lshl_b64 s[14:15], s[12:13], 2
	s_add_u32 s14, s6, s14
	s_addc_u32 s15, s11, s15
	s_branch .LBB33_9
.LBB33_8:                               ;   in Loop: Header=BB33_9 Depth=2
	s_add_i32 s12, s12, 1
	global_store_dword v6, v6, s[14:15]
	s_add_u32 s14, s14, 4
	s_addc_u32 s15, s15, 0
	s_cmp_ge_i32 s12, s8
	s_cselect_b64 s[16:17], -1, 0
	s_mov_b32 s23, s8
	s_andn2_b64 vcc, exec, s[16:17]
	s_cbranch_vccz .LBB33_11
.LBB33_9:                               ;   Parent Loop BB33_4 Depth=1
                                        ; =>  This Inner Loop Header: Depth=2
	global_load_dword v0, v6, s[14:15]
	s_mov_b64 s[16:17], -1
	s_waitcnt vmcnt(0)
	v_cmp_nlt_f32_e64 s[24:25], |v0|, s10
	s_and_b64 vcc, exec, s[24:25]
	s_cbranch_vccz .LBB33_8
; %bb.10:                               ;   in Loop: Header=BB33_9 Depth=2
	s_mov_b32 s23, s12
                                        ; implicit-def: $sgpr12
                                        ; implicit-def: $sgpr14_sgpr15
	s_andn2_b64 vcc, exec, s[16:17]
	s_cbranch_vccnz .LBB33_9
.LBB33_11:                              ;   in Loop: Header=BB33_4 Depth=1
	s_cmp_le_i32 s8, s23
	s_cbranch_scc1 .LBB33_17
.LBB33_12:                              ;   in Loop: Header=BB33_4 Depth=1
	s_ashr_i32 s9, s8, 31
	s_lshl_b64 s[12:13], s[8:9], 2
	s_add_u32 s12, s21, s12
	s_addc_u32 s13, s22, s13
	s_branch .LBB33_14
.LBB33_13:                              ;   in Loop: Header=BB33_14 Depth=2
	s_add_i32 s8, s8, -1
	global_store_dword v6, v6, s[12:13]
	s_add_u32 s12, s12, -4
	s_addc_u32 s13, s13, -1
	s_cmp_le_i32 s8, s23
	s_cselect_b64 s[14:15], -1, 0
	s_mov_b32 s16, s23
	s_andn2_b64 vcc, exec, s[14:15]
	s_cbranch_vccz .LBB33_18
.LBB33_14:                              ;   Parent Loop BB33_4 Depth=1
                                        ; =>  This Inner Loop Header: Depth=2
	global_load_dword v0, v6, s[12:13]
	s_mov_b64 s[14:15], -1
	s_waitcnt vmcnt(0)
	v_cmp_nlt_f32_e64 s[16:17], |v0|, s10
	s_and_b64 vcc, exec, s[16:17]
	s_cbranch_vccz .LBB33_13
; %bb.15:                               ;   in Loop: Header=BB33_14 Depth=2
	s_mov_b32 s16, s8
                                        ; implicit-def: $sgpr8
                                        ; implicit-def: $sgpr12_sgpr13
	s_andn2_b64 vcc, exec, s[14:15]
	s_cbranch_vccnz .LBB33_14
	s_branch .LBB33_18
.LBB33_16:                              ;   in Loop: Header=BB33_4 Depth=1
	s_mov_b32 s23, s12
	s_cmp_le_i32 s8, s23
	s_cbranch_scc0 .LBB33_12
.LBB33_17:                              ;   in Loop: Header=BB33_4 Depth=1
	s_mov_b32 s16, s8
.LBB33_18:                              ;   in Loop: Header=BB33_4 Depth=1
	s_cmp_lt_i32 s23, s16
	s_cselect_b64 s[8:9], -1, 0
	s_and_b64 s[0:1], s[0:1], s[8:9]
	s_andn2_b64 vcc, exec, s[0:1]
	s_mov_b32 s8, s23
	s_cbranch_vccnz .LBB33_3
.LBB33_19:                              ;   Parent Loop BB33_4 Depth=1
                                        ; =>  This Loop Header: Depth=2
                                        ;       Child Loop BB33_26 Depth 3
	s_ashr_i32 s9, s8, 31
	s_lshl_b64 s[0:1], s[8:9], 2
	s_add_u32 s0, s6, s0
	s_addc_u32 s1, s11, s1
	global_load_dword v0, v6, s[0:1]
	s_mov_b64 s[12:13], -1
                                        ; implicit-def: $sgpr9
	s_waitcnt vmcnt(0)
	v_cmp_lt_f32_e64 s[14:15], |v0|, s10
	s_and_b64 vcc, exec, s[14:15]
	s_cbranch_vccz .LBB33_22
; %bb.20:                               ;   in Loop: Header=BB33_19 Depth=2
	s_andn2_b64 vcc, exec, s[12:13]
	s_cbranch_vccz .LBB33_23
.LBB33_21:                              ;   in Loop: Header=BB33_19 Depth=2
	s_cmp_lt_i32 s9, s16
	s_cbranch_scc1 .LBB33_30
	s_branch .LBB33_3
.LBB33_22:                              ;   in Loop: Header=BB33_19 Depth=2
	s_add_i32 s9, s8, 1
	s_cbranch_execnz .LBB33_21
.LBB33_23:                              ;   in Loop: Header=BB33_19 Depth=2
	s_cmp_ge_i32 s23, s8
	global_store_dword v6, v6, s[0:1]
	s_cbranch_scc1 .LBB33_29
; %bb.24:                               ;   in Loop: Header=BB33_19 Depth=2
	s_mov_b64 s[0:1], exec
	v_mbcnt_lo_u32_b32 v0, s0, 0
	v_mbcnt_hi_u32_b32 v0, s1, v0
	v_cmp_eq_u32_e32 vcc, 0, v0
                                        ; implicit-def: $vgpr1
	s_and_saveexec_b64 s[12:13], vcc
	s_cbranch_execz .LBB33_28
; %bb.25:                               ;   in Loop: Header=BB33_19 Depth=2
	global_load_dword v1, v6, s[2:3] offset:12
	s_bcnt1_i32_b64 s0, s[0:1]
	v_cvt_f32_ubyte0_e32 v3, s0
	s_mov_b64 s[14:15], 0
.LBB33_26:                              ;   Parent Loop BB33_4 Depth=1
                                        ;     Parent Loop BB33_19 Depth=2
                                        ; =>    This Inner Loop Header: Depth=3
	s_waitcnt vmcnt(0)
	v_mov_b32_e32 v9, v1
	v_add_f32_e32 v8, v9, v3
	global_atomic_cmpswap v1, v6, v[8:9], s[2:3] offset:12 glc
	s_waitcnt vmcnt(0)
	v_cmp_eq_u32_e64 s[0:1], v1, v9
	s_or_b64 s[14:15], s[0:1], s[14:15]
	s_andn2_b64 exec, exec, s[14:15]
	s_cbranch_execnz .LBB33_26
; %bb.27:                               ;   in Loop: Header=BB33_19 Depth=2
	s_or_b64 exec, exec, s[14:15]
.LBB33_28:                              ;   in Loop: Header=BB33_19 Depth=2
	s_or_b64 exec, exec, s[12:13]
	v_readfirstlane_b32 s0, v1
	v_cvt_f32_ubyte0_e32 v0, v0
	v_add_f32_e32 v0, s0, v0
	v_mov_b32_e32 v1, s0
	v_cndmask_b32_e32 v0, v0, v1, vcc
	v_add_f32_e32 v0, v0, v5
	v_cvt_i32_f32_e32 v0, v0
	v_mov_b32_e32 v3, s20
	v_lshlrev_b32_e32 v0, 2, v0
	v_ashrrev_i32_e32 v1, 31, v0
	v_lshlrev_b64 v[0:1], 2, v[0:1]
	v_add_co_u32_e32 v8, vcc, s19, v0
	v_addc_co_u32_e32 v9, vcc, v3, v1, vcc
	v_mov_b32_e32 v0, s23
	v_mov_b32_e32 v1, s8
	global_store_dwordx3 v[8:9], v[0:2], off offset:4
.LBB33_29:                              ;   in Loop: Header=BB33_19 Depth=2
	s_add_i32 s9, s8, 1
	s_mov_b32 s23, s9
	s_cmp_lt_i32 s9, s16
	s_cbranch_scc0 .LBB33_3
.LBB33_30:                              ;   in Loop: Header=BB33_19 Depth=2
	s_mov_b32 s8, s9
	s_branch .LBB33_19
.LBB33_31:
	s_endpgm
	.section	.rodata,"a",@progbits
	.p2align	6, 0x0
	.amdhsa_kernel _ZN9rocsolver6v33100L22bdsqr_update_endpointsI19rocblas_complex_numIfEfEEviPT0_lPiS5_lS6_
		.amdhsa_group_segment_fixed_size 0
		.amdhsa_private_segment_fixed_size 0
		.amdhsa_kernarg_size 312
		.amdhsa_user_sgpr_count 6
		.amdhsa_user_sgpr_private_segment_buffer 1
		.amdhsa_user_sgpr_dispatch_ptr 0
		.amdhsa_user_sgpr_queue_ptr 0
		.amdhsa_user_sgpr_kernarg_segment_ptr 1
		.amdhsa_user_sgpr_dispatch_id 0
		.amdhsa_user_sgpr_flat_scratch_init 0
		.amdhsa_user_sgpr_kernarg_preload_length 0
		.amdhsa_user_sgpr_kernarg_preload_offset 0
		.amdhsa_user_sgpr_private_segment_size 0
		.amdhsa_uses_dynamic_stack 0
		.amdhsa_system_sgpr_private_segment_wavefront_offset 0
		.amdhsa_system_sgpr_workgroup_id_x 1
		.amdhsa_system_sgpr_workgroup_id_y 1
		.amdhsa_system_sgpr_workgroup_id_z 1
		.amdhsa_system_sgpr_workgroup_info 0
		.amdhsa_system_vgpr_workitem_id 0
		.amdhsa_next_free_vgpr 10
		.amdhsa_next_free_sgpr 26
		.amdhsa_accum_offset 12
		.amdhsa_reserve_vcc 1
		.amdhsa_reserve_flat_scratch 0
		.amdhsa_float_round_mode_32 0
		.amdhsa_float_round_mode_16_64 0
		.amdhsa_float_denorm_mode_32 3
		.amdhsa_float_denorm_mode_16_64 3
		.amdhsa_dx10_clamp 1
		.amdhsa_ieee_mode 1
		.amdhsa_fp16_overflow 0
		.amdhsa_tg_split 0
		.amdhsa_exception_fp_ieee_invalid_op 0
		.amdhsa_exception_fp_denorm_src 0
		.amdhsa_exception_fp_ieee_div_zero 0
		.amdhsa_exception_fp_ieee_overflow 0
		.amdhsa_exception_fp_ieee_underflow 0
		.amdhsa_exception_fp_ieee_inexact 0
		.amdhsa_exception_int_div_zero 0
	.end_amdhsa_kernel
	.section	.text._ZN9rocsolver6v33100L22bdsqr_update_endpointsI19rocblas_complex_numIfEfEEviPT0_lPiS5_lS6_,"axG",@progbits,_ZN9rocsolver6v33100L22bdsqr_update_endpointsI19rocblas_complex_numIfEfEEviPT0_lPiS5_lS6_,comdat
.Lfunc_end33:
	.size	_ZN9rocsolver6v33100L22bdsqr_update_endpointsI19rocblas_complex_numIfEfEEviPT0_lPiS5_lS6_, .Lfunc_end33-_ZN9rocsolver6v33100L22bdsqr_update_endpointsI19rocblas_complex_numIfEfEEviPT0_lPiS5_lS6_
                                        ; -- End function
	.section	.AMDGPU.csdata,"",@progbits
; Kernel info:
; codeLenInByte = 892
; NumSgprs: 30
; NumVgprs: 10
; NumAgprs: 0
; TotalNumVgprs: 10
; ScratchSize: 0
; MemoryBound: 0
; FloatMode: 240
; IeeeMode: 1
; LDSByteSize: 0 bytes/workgroup (compile time only)
; SGPRBlocks: 3
; VGPRBlocks: 1
; NumSGPRsForWavesPerEU: 30
; NumVGPRsForWavesPerEU: 10
; AccumOffset: 12
; Occupancy: 8
; WaveLimiterHint : 1
; COMPUTE_PGM_RSRC2:SCRATCH_EN: 0
; COMPUTE_PGM_RSRC2:USER_SGPR: 6
; COMPUTE_PGM_RSRC2:TRAP_HANDLER: 0
; COMPUTE_PGM_RSRC2:TGID_X_EN: 1
; COMPUTE_PGM_RSRC2:TGID_Y_EN: 1
; COMPUTE_PGM_RSRC2:TGID_Z_EN: 1
; COMPUTE_PGM_RSRC2:TIDIG_COMP_CNT: 0
; COMPUTE_PGM_RSRC3_GFX90A:ACCUM_OFFSET: 2
; COMPUTE_PGM_RSRC3_GFX90A:TG_SPLIT: 0
	.section	.text._ZN9rocsolver6v33100L19bdsqr_chk_completedI19rocblas_complex_numIfEfEEviiPiPT0_lS4_,"axG",@progbits,_ZN9rocsolver6v33100L19bdsqr_chk_completedI19rocblas_complex_numIfEfEEviiPiPT0_lS4_,comdat
	.globl	_ZN9rocsolver6v33100L19bdsqr_chk_completedI19rocblas_complex_numIfEfEEviiPiPT0_lS4_ ; -- Begin function _ZN9rocsolver6v33100L19bdsqr_chk_completedI19rocblas_complex_numIfEfEEviiPiPT0_lS4_
	.p2align	8
	.type	_ZN9rocsolver6v33100L19bdsqr_chk_completedI19rocblas_complex_numIfEfEEviiPiPT0_lS4_,@function
_ZN9rocsolver6v33100L19bdsqr_chk_completedI19rocblas_complex_numIfEfEEviiPiPT0_lS4_: ; @_ZN9rocsolver6v33100L19bdsqr_chk_completedI19rocblas_complex_numIfEfEEviiPiPT0_lS4_
; %bb.0:
	s_load_dwordx8 s[8:15], s[4:5], 0x8
	s_mov_b32 s2, s7
	s_ashr_i32 s3, s7, 31
	s_lshl_b64 s[0:1], s[2:3], 2
	s_waitcnt lgkmcnt(0)
	s_add_u32 s0, s14, s0
	s_addc_u32 s1, s15, s1
	s_load_dword s6, s[0:1], 0x8
	s_waitcnt lgkmcnt(0)
	s_cmp_lg_u32 s6, 0
	s_cbranch_scc0 .LBB34_2
.LBB34_1:
	s_endpgm
.LBB34_2:
	s_mul_i32 s6, s2, s13
	s_mul_hi_u32 s7, s2, s12
	s_add_i32 s6, s7, s6
	s_mul_i32 s3, s3, s12
	s_add_i32 s7, s6, s3
	s_mul_i32 s6, s2, s12
	s_lshl_b64 s[6:7], s[6:7], 2
	s_add_u32 s6, s10, s6
	s_addc_u32 s7, s11, s7
	s_load_dwordx2 s[10:11], s[6:7], 0x8
	s_load_dword s3, s[14:15], 0x4
	v_mov_b32_e32 v3, 0
	s_waitcnt lgkmcnt(0)
	v_mov_b32_e32 v0, s11
	v_add_f32_e32 v0, s10, v0
	v_cvt_i32_f32_e32 v0, v0
	v_cvt_f32_i32_e32 v2, v0
	v_cmp_ge_i32_e32 vcc, s3, v0
	global_store_dwordx2 v3, v[2:3], s[6:7] offset:8
	s_cbranch_vccnz .LBB34_6
; %bb.3:
	s_mov_b64 s[6:7], 0
	v_mov_b32_e32 v1, s3
.LBB34_4:                               ; =>This Inner Loop Header: Depth=1
	global_atomic_cmpswap v1, v3, v[0:1], s[14:15] offset:4 glc
	s_waitcnt vmcnt(0)
	v_cmp_ge_i32_e32 vcc, v1, v0
	s_or_b64 s[6:7], vcc, s[6:7]
	s_andn2_b64 exec, exec, s[6:7]
	s_cbranch_execnz .LBB34_4
; %bb.5:
	s_or_b64 exec, exec, s[6:7]
.LBB34_6:
	v_cmp_gt_i32_e32 vcc, 1, v0
	s_cbranch_vccnz .LBB34_14
; %bb.7:
	s_load_dwordx2 s[4:5], s[4:5], 0x0
	v_mov_b32_e32 v1, 0
	s_waitcnt lgkmcnt(0)
	s_mul_i32 s2, s2, s4
	s_lshl_b32 s2, s2, 1
	s_ashr_i32 s3, s2, 31
	s_lshl_b64 s[2:3], s[2:3], 2
	s_add_u32 s2, s2, s8
	s_addc_u32 s3, s3, s9
	s_add_u32 s2, s2, 12
	s_addc_u32 s3, s3, 0
	s_branch .LBB34_9
.LBB34_8:                               ;   in Loop: Header=BB34_9 Depth=1
	v_add_u32_e32 v0, -1, v0
	s_add_u32 s2, s2, 16
	s_addc_u32 s3, s3, 0
	s_mov_b64 s[6:7], 0
	v_cmp_eq_u32_e64 s[8:9], 0, v0
	s_andn2_b64 vcc, exec, s[8:9]
	s_cbranch_vccz .LBB34_13
.LBB34_9:                               ; =>This Inner Loop Header: Depth=1
	global_load_dwordx2 v[2:3], v1, s[2:3] offset:-8
	s_mov_b64 s[8:9], -1
                                        ; implicit-def: $sgpr6_sgpr7
	s_waitcnt vmcnt(0)
	v_cmp_ge_i32_e32 vcc, v2, v3
	s_cbranch_vccnz .LBB34_11
; %bb.10:                               ;   in Loop: Header=BB34_9 Depth=1
	global_load_dword v2, v1, s[2:3]
	s_mov_b64 s[6:7], -1
	s_waitcnt vmcnt(0)
	v_cmp_le_i32_e64 s[8:9], s5, v2
.LBB34_11:                              ;   in Loop: Header=BB34_9 Depth=1
	s_andn2_b64 vcc, exec, s[8:9]
	s_cbranch_vccz .LBB34_8
; %bb.12:
                                        ; implicit-def: $vgpr0
                                        ; implicit-def: $sgpr2_sgpr3
.LBB34_13:
	s_xor_b64 s[2:3], s[6:7], -1
	s_and_b64 vcc, exec, s[2:3]
	s_cbranch_vccz .LBB34_1
	s_branch .LBB34_15
.LBB34_14:
	s_cbranch_execz .LBB34_1
.LBB34_15:
	s_mov_b64 s[2:3], exec
	v_mov_b32_e32 v0, 0
	v_mov_b32_e32 v1, 1
	global_store_dword v0, v1, s[0:1] offset:8
	v_mbcnt_lo_u32_b32 v1, s2, 0
	v_mbcnt_hi_u32_b32 v1, s3, v1
	v_cmp_eq_u32_e32 vcc, 0, v1
	s_and_saveexec_b64 s[0:1], vcc
	s_cbranch_execz .LBB34_1
; %bb.16:
	s_bcnt1_i32_b64 s0, s[2:3]
	v_mov_b32_e32 v1, s0
	global_atomic_add v0, v1, s[14:15]
	s_endpgm
	.section	.rodata,"a",@progbits
	.p2align	6, 0x0
	.amdhsa_kernel _ZN9rocsolver6v33100L19bdsqr_chk_completedI19rocblas_complex_numIfEfEEviiPiPT0_lS4_
		.amdhsa_group_segment_fixed_size 0
		.amdhsa_private_segment_fixed_size 0
		.amdhsa_kernarg_size 40
		.amdhsa_user_sgpr_count 6
		.amdhsa_user_sgpr_private_segment_buffer 1
		.amdhsa_user_sgpr_dispatch_ptr 0
		.amdhsa_user_sgpr_queue_ptr 0
		.amdhsa_user_sgpr_kernarg_segment_ptr 1
		.amdhsa_user_sgpr_dispatch_id 0
		.amdhsa_user_sgpr_flat_scratch_init 0
		.amdhsa_user_sgpr_kernarg_preload_length 0
		.amdhsa_user_sgpr_kernarg_preload_offset 0
		.amdhsa_user_sgpr_private_segment_size 0
		.amdhsa_uses_dynamic_stack 0
		.amdhsa_system_sgpr_private_segment_wavefront_offset 0
		.amdhsa_system_sgpr_workgroup_id_x 1
		.amdhsa_system_sgpr_workgroup_id_y 1
		.amdhsa_system_sgpr_workgroup_id_z 0
		.amdhsa_system_sgpr_workgroup_info 0
		.amdhsa_system_vgpr_workitem_id 0
		.amdhsa_next_free_vgpr 4
		.amdhsa_next_free_sgpr 16
		.amdhsa_accum_offset 4
		.amdhsa_reserve_vcc 1
		.amdhsa_reserve_flat_scratch 0
		.amdhsa_float_round_mode_32 0
		.amdhsa_float_round_mode_16_64 0
		.amdhsa_float_denorm_mode_32 3
		.amdhsa_float_denorm_mode_16_64 3
		.amdhsa_dx10_clamp 1
		.amdhsa_ieee_mode 1
		.amdhsa_fp16_overflow 0
		.amdhsa_tg_split 0
		.amdhsa_exception_fp_ieee_invalid_op 0
		.amdhsa_exception_fp_denorm_src 0
		.amdhsa_exception_fp_ieee_div_zero 0
		.amdhsa_exception_fp_ieee_overflow 0
		.amdhsa_exception_fp_ieee_underflow 0
		.amdhsa_exception_fp_ieee_inexact 0
		.amdhsa_exception_int_div_zero 0
	.end_amdhsa_kernel
	.section	.text._ZN9rocsolver6v33100L19bdsqr_chk_completedI19rocblas_complex_numIfEfEEviiPiPT0_lS4_,"axG",@progbits,_ZN9rocsolver6v33100L19bdsqr_chk_completedI19rocblas_complex_numIfEfEEviiPiPT0_lS4_,comdat
.Lfunc_end34:
	.size	_ZN9rocsolver6v33100L19bdsqr_chk_completedI19rocblas_complex_numIfEfEEviiPiPT0_lS4_, .Lfunc_end34-_ZN9rocsolver6v33100L19bdsqr_chk_completedI19rocblas_complex_numIfEfEEviiPiPT0_lS4_
                                        ; -- End function
	.section	.AMDGPU.csdata,"",@progbits
; Kernel info:
; codeLenInByte = 424
; NumSgprs: 20
; NumVgprs: 4
; NumAgprs: 0
; TotalNumVgprs: 4
; ScratchSize: 0
; MemoryBound: 0
; FloatMode: 240
; IeeeMode: 1
; LDSByteSize: 0 bytes/workgroup (compile time only)
; SGPRBlocks: 2
; VGPRBlocks: 0
; NumSGPRsForWavesPerEU: 20
; NumVGPRsForWavesPerEU: 4
; AccumOffset: 4
; Occupancy: 8
; WaveLimiterHint : 0
; COMPUTE_PGM_RSRC2:SCRATCH_EN: 0
; COMPUTE_PGM_RSRC2:USER_SGPR: 6
; COMPUTE_PGM_RSRC2:TRAP_HANDLER: 0
; COMPUTE_PGM_RSRC2:TGID_X_EN: 1
; COMPUTE_PGM_RSRC2:TGID_Y_EN: 1
; COMPUTE_PGM_RSRC2:TGID_Z_EN: 0
; COMPUTE_PGM_RSRC2:TIDIG_COMP_CNT: 0
; COMPUTE_PGM_RSRC3_GFX90A:ACCUM_OFFSET: 0
; COMPUTE_PGM_RSRC3_GFX90A:TG_SPLIT: 0
	.section	.text._ZN9rocsolver6v33100L14bdsqr_finalizeI19rocblas_complex_numIfEfPS3_S4_S4_EEviiiiPT0_lS6_lT1_iilT2_iilT3_iilPiSA_SA_,"axG",@progbits,_ZN9rocsolver6v33100L14bdsqr_finalizeI19rocblas_complex_numIfEfPS3_S4_S4_EEviiiiPT0_lS6_lT1_iilT2_iilT3_iilPiSA_SA_,comdat
	.globl	_ZN9rocsolver6v33100L14bdsqr_finalizeI19rocblas_complex_numIfEfPS3_S4_S4_EEviiiiPT0_lS6_lT1_iilT2_iilT3_iilPiSA_SA_ ; -- Begin function _ZN9rocsolver6v33100L14bdsqr_finalizeI19rocblas_complex_numIfEfPS3_S4_S4_EEviiiiPT0_lS6_lT1_iilT2_iilT3_iilPiSA_SA_
	.p2align	8
	.type	_ZN9rocsolver6v33100L14bdsqr_finalizeI19rocblas_complex_numIfEfPS3_S4_S4_EEviiiiPT0_lS6_lT1_iilT2_iilT3_iilPiSA_SA_,@function
_ZN9rocsolver6v33100L14bdsqr_finalizeI19rocblas_complex_numIfEfPS3_S4_S4_EEviiiiPT0_lS6_lT1_iilT2_iilT3_iilPiSA_SA_: ; @_ZN9rocsolver6v33100L14bdsqr_finalizeI19rocblas_complex_numIfEfPS3_S4_S4_EEviiiiPT0_lS6_lT1_iilT2_iilT3_iilPiSA_SA_
; %bb.0:
	s_add_u32 flat_scratch_lo, s6, s10
	s_load_dwordx8 s[36:43], s[4:5], 0x70
	s_addc_u32 flat_scratch_hi, s7, 0
	s_add_u32 s0, s0, s10
	s_addc_u32 s1, s1, 0
	s_mov_b32 s12, s9
	s_ashr_i32 s13, s9, 31
	s_lshl_b64 s[26:27], s[12:13], 2
	s_waitcnt lgkmcnt(0)
	s_add_u32 s6, s42, s26
	s_addc_u32 s7, s43, s27
	s_load_dword s6, s[6:7], 0x8
	s_mov_b32 s32, 0
	s_waitcnt lgkmcnt(0)
	s_cmp_gt_i32 s6, 1
	s_cbranch_scc1 .LBB35_264
; %bb.1:
	s_load_dwordx2 s[6:7], s[4:5], 0x9c
	s_load_dwordx8 s[44:51], s[4:5], 0x30
	s_load_dwordx8 s[52:59], s[4:5], 0x10
	s_mov_b64 s[28:29], 0
	s_mov_b64 s[34:35], 0
	s_waitcnt lgkmcnt(0)
	s_and_b32 s7, s7, 0xffff
	s_cmp_eq_u64 s[44:45], 0
	s_cbranch_scc1 .LBB35_3
; %bb.2:
	s_mul_i32 s10, s12, s49
	s_mul_hi_u32 s11, s12, s48
	s_add_i32 s10, s11, s10
	s_mul_i32 s11, s13, s48
	s_add_i32 s11, s10, s11
	s_mul_i32 s10, s12, s48
	s_ashr_i32 s9, s46, 31
	s_lshl_b64 s[10:11], s[10:11], 3
	s_mov_b32 s8, s46
	s_add_u32 s10, s44, s10
	s_addc_u32 s11, s45, s11
	s_lshl_b64 s[8:9], s[8:9], 3
	s_add_u32 s34, s10, s8
	s_addc_u32 s35, s11, s9
.LBB35_3:
	s_load_dwordx2 s[42:43], s[4:5], 0x50
	s_load_dwordx4 s[8:11], s[4:5], 0x58
	s_cmp_eq_u64 s[50:51], 0
	s_cbranch_scc1 .LBB35_5
; %bb.4:
	s_waitcnt lgkmcnt(0)
	s_mul_i32 s9, s12, s9
	s_mul_hi_u32 s16, s12, s8
	s_add_i32 s9, s16, s9
	s_mul_i32 s16, s13, s8
	s_add_i32 s9, s9, s16
	s_mul_i32 s8, s12, s8
	s_ashr_i32 s15, s42, 31
	s_lshl_b64 s[8:9], s[8:9], 3
	s_mov_b32 s14, s42
	s_add_u32 s16, s50, s8
	s_addc_u32 s17, s51, s9
	s_lshl_b64 s[8:9], s[14:15], 3
	s_add_u32 s28, s16, s8
	s_addc_u32 s29, s17, s9
.LBB35_5:
	s_load_dwordx2 s[60:61], s[4:5], 0x68
	s_waitcnt lgkmcnt(0)
	s_cmp_eq_u64 s[10:11], 0
	s_mov_b64 s[44:45], 0
	s_cbranch_scc1 .LBB35_7
; %bb.6:
	s_mul_i32 s14, s12, s37
	s_mul_hi_u32 s15, s12, s36
	s_add_i32 s14, s15, s14
	s_mul_i32 s15, s13, s36
	s_add_i32 s15, s14, s15
	s_mul_i32 s14, s12, s36
	s_ashr_i32 s9, s60, 31
	s_lshl_b64 s[14:15], s[14:15], 3
	s_mov_b32 s8, s60
	s_add_u32 s10, s10, s14
	s_addc_u32 s11, s11, s15
	s_lshl_b64 s[8:9], s[8:9], 3
	s_add_u32 s44, s10, s8
	s_addc_u32 s45, s11, s9
.LBB35_7:
	s_mul_i32 s8, s12, s55
	s_mul_hi_u32 s9, s12, s54
	s_add_i32 s8, s9, s8
	s_mul_i32 s9, s13, s54
	s_add_i32 s9, s8, s9
	s_mul_i32 s8, s12, s54
	s_lshl_b64 s[54:55], s[8:9], 2
	s_add_u32 s36, s52, s54
	s_load_dwordx4 s[48:51], s[4:5], 0x0
	s_addc_u32 s37, s53, s55
	s_lshr_b32 s8, s6, 16
	s_and_b32 s42, s6, 0xffff
	v_bfe_u32 v43, v0, 10, 10
	v_bfe_u32 v44, v0, 20, 10
	s_mul_i32 s60, s8, s42
	v_and_b32_e32 v42, 0x3ff, v0
	v_mul_u32_u24_e32 v1, s42, v43
	v_mul_lo_u32 v0, s60, v44
	v_add3_u32 v41, v1, v42, v0
	s_and_b32 s6, s7, 0xffff
	s_mul_i32 s60, s60, s6
	s_waitcnt lgkmcnt(0)
	s_cmp_lt_i32 s48, 1
	v_cmp_eq_u32_e64 s[6:7], 0, v41
	s_cbranch_scc1 .LBB35_22
; %bb.8:
	s_mul_i32 s8, s12, s59
	s_mul_hi_u32 s9, s12, s58
	s_add_i32 s8, s9, s8
	s_mul_i32 s9, s13, s58
	s_add_i32 s9, s8, s9
	s_mul_i32 s8, s12, s58
	s_lshl_b64 s[8:9], s[8:9], 2
	s_add_u32 s13, s56, s8
	s_addc_u32 s22, s57, s9
	s_add_i32 s23, s48, -1
	s_cmp_lg_u32 s49, 0
	s_cselect_b64 s[10:11], -1, 0
	s_mov_b32 s15, 0
	v_cndmask_b32_e64 v0, 0, 1, s[10:11]
	v_cmp_gt_u32_e64 s[8:9], s49, v41
	s_ashr_i32 s24, s47, 31
	s_mov_b32 s25, s47
	v_mov_b32_e32 v2, 0
	v_cmp_ne_u32_e64 s[10:11], 1, v0
	v_mov_b32_e32 v3, s35
	s_mov_b32 s14, s15
	s_mov_b32 s46, s15
	s_branch .LBB35_11
.LBB35_9:                               ;   in Loop: Header=BB35_11 Depth=1
	s_or_b64 exec, exec, s[18:19]
.LBB35_10:                              ;   in Loop: Header=BB35_11 Depth=1
	s_add_i32 s14, s14, 1
	s_cmp_eq_u32 s14, s48
	s_cbranch_scc1 .LBB35_23
.LBB35_11:                              ; =>This Loop Header: Depth=1
                                        ;     Child Loop BB35_18 Depth 2
	s_cmp_ge_i32 s14, s23
	s_cbranch_scc1 .LBB35_14
; %bb.12:                               ;   in Loop: Header=BB35_11 Depth=1
	s_lshl_b64 s[16:17], s[14:15], 2
	s_add_u32 s16, s13, s16
	s_addc_u32 s17, s22, s17
	global_load_dword v0, v2, s[16:17]
	s_waitcnt vmcnt(0)
	v_cmp_eq_f32_e32 vcc, 0, v0
	s_cbranch_vccnz .LBB35_14
; %bb.13:                               ;   in Loop: Header=BB35_11 Depth=1
	s_add_i32 s46, s46, 1
.LBB35_14:                              ;   in Loop: Header=BB35_11 Depth=1
	s_lshl_b64 s[16:17], s[14:15], 2
	s_add_u32 s16, s36, s16
	s_addc_u32 s17, s37, s17
	global_load_dword v0, v2, s[16:17]
	s_waitcnt vmcnt(0)
	v_cmp_ngt_f32_e32 vcc, 0, v0
	s_cbranch_vccnz .LBB35_10
; %bb.15:                               ;   in Loop: Header=BB35_11 Depth=1
	s_and_b64 vcc, exec, s[10:11]
	s_cbranch_vccnz .LBB35_20
; %bb.16:                               ;   in Loop: Header=BB35_11 Depth=1
	s_and_saveexec_b64 s[18:19], s[8:9]
	s_cbranch_execz .LBB35_19
; %bb.17:                               ;   in Loop: Header=BB35_11 Depth=1
	s_mov_b64 s[20:21], 0
	v_pk_mov_b32 v[0:1], s[14:15], s[14:15] op_sel:[0,1]
	v_mov_b32_e32 v4, v41
.LBB35_18:                              ;   Parent Loop BB35_11 Depth=1
                                        ; =>  This Inner Loop Header: Depth=2
	v_mad_u64_u32 v[6:7], s[30:31], v4, s25, v[0:1]
	v_mov_b32_e32 v8, v7
	v_mad_u64_u32 v[8:9], s[30:31], v4, s24, v[8:9]
	v_mov_b32_e32 v7, v8
	v_lshlrev_b64 v[6:7], 3, v[6:7]
	v_add_co_u32_e32 v6, vcc, s34, v6
	v_addc_co_u32_e32 v7, vcc, v3, v7, vcc
	flat_load_dwordx2 v[8:9], v[6:7]
	v_add_u32_e32 v4, s60, v4
	v_cmp_le_u32_e32 vcc, s49, v4
	s_or_b64 s[20:21], vcc, s[20:21]
	s_waitcnt vmcnt(0) lgkmcnt(0)
	v_pk_add_f32 v[8:9], v[8:9], 0 neg_lo:[1,1] neg_hi:[1,1]
	flat_store_dwordx2 v[6:7], v[8:9]
	s_andn2_b64 exec, exec, s[20:21]
	s_cbranch_execnz .LBB35_18
.LBB35_19:                              ;   in Loop: Header=BB35_11 Depth=1
	s_or_b64 exec, exec, s[18:19]
	s_waitcnt lgkmcnt(0)
	s_barrier
.LBB35_20:                              ;   in Loop: Header=BB35_11 Depth=1
	s_and_saveexec_b64 s[18:19], s[6:7]
	s_cbranch_execz .LBB35_9
; %bb.21:                               ;   in Loop: Header=BB35_11 Depth=1
	global_load_dword v0, v2, s[16:17]
	s_waitcnt vmcnt(0)
	v_xor_b32_e32 v0, 0x80000000, v0
	global_store_dword v2, v0, s[16:17]
	s_branch .LBB35_9
.LBB35_22:
	s_mov_b32 s46, 0
.LBB35_23:
	s_cmp_lt_i32 s46, 1
	s_mov_b64 s[6:7], -1
	s_cbranch_scc0 .LBB35_261
; %bb.24:
	s_mul_i32 s6, s12, s48
	s_lshl_b32 s6, s6, 1
	s_ashr_i32 s7, s6, 31
	s_lshl_b64 s[6:7], s[6:7], 2
	s_add_u32 s6, s40, s6
	s_addc_u32 s7, s41, s7
	s_cmp_lg_u64 s[40:41], 0
	s_cselect_b32 s57, s7, 0
	s_cselect_b32 s56, s6, 0
	s_mov_b64 s[62:63], 0
	s_cmp_lg_u64 s[56:57], 0
	s_barrier
	s_cbranch_scc0 .LBB35_40
; %bb.25:
	s_or_b32 s6, s50, s49
	s_or_b32 s8, s6, s51
	s_cmp_gt_i32 s48, 0
	s_cselect_b64 s[64:65], -1, 0
	s_cmp_lg_u64 s[52:53], 0
	s_cselect_b64 s[6:7], -1, 0
	s_and_b64 s[40:41], s[64:65], s[6:7]
	s_cmp_eq_u32 s8, 0
	s_cbranch_scc1 .LBB35_41
; %bb.26:
	s_mov_b64 s[66:67], -1
	s_mov_b64 s[58:59], 0
	s_and_b64 vcc, exec, s[40:41]
	s_cbranch_vccz .LBB35_119
; %bb.27:
	v_cmp_gt_u32_e32 vcc, s48, v41
	s_barrier
	s_and_saveexec_b64 s[6:7], vcc
	s_cbranch_execz .LBB35_30
; %bb.28:
	s_mov_b64 s[8:9], 0
	v_mov_b32_e32 v1, 0
	v_mov_b32_e32 v2, s57
	;; [unrolled: 1-line block ×3, first 2 shown]
.LBB35_29:                              ; =>This Inner Loop Header: Depth=1
	v_lshlrev_b64 v[4:5], 2, v[0:1]
	v_add_co_u32_e32 v4, vcc, s56, v4
	v_addc_co_u32_e32 v5, vcc, v2, v5, vcc
	global_store_dword v[4:5], v0, off
	v_add_u32_e32 v0, s60, v0
	v_cmp_le_u32_e32 vcc, s48, v0
	s_or_b64 s[8:9], vcc, s[8:9]
	s_andn2_b64 exec, exec, s[8:9]
	s_cbranch_execnz .LBB35_29
.LBB35_30:
	s_or_b64 exec, exec, s[6:7]
	v_or3_b32 v0, v43, v44, v42
	v_cmp_eq_u32_e32 vcc, 0, v0
	s_barrier
	s_and_saveexec_b64 s[6:7], vcc
	s_cbranch_execz .LBB35_103
; %bb.31:
	s_cmpk_lt_i32 s48, 0x2be
	s_cbranch_scc1 .LBB35_42
; %bb.32:
	s_add_u32 s8, s56, 0xaf4
	s_addc_u32 s9, s57, 0
	s_mov_b64 s[10:11], 0x2bd
	v_mov_b32_e32 v0, 0
	s_mov_b64 s[12:13], s[36:37]
	s_branch .LBB35_34
.LBB35_33:                              ;   in Loop: Header=BB35_34 Depth=1
	s_lshl_b64 s[14:15], s[14:15], 2
	s_add_u32 s16, s36, s14
	s_addc_u32 s17, s37, s15
	s_add_u32 s14, s56, s14
	s_addc_u32 s15, s57, s15
	;; [unrolled: 2-line block ×5, first 2 shown]
	s_cmp_eq_u32 s10, s48
	global_store_dword v0, v2, s[16:17]
	global_store_dword v0, v1, s[14:15]
	s_cbranch_scc1 .LBB35_42
.LBB35_34:                              ; =>This Loop Header: Depth=1
                                        ;     Child Loop BB35_36 Depth 2
	s_lshl_b64 s[14:15], s[10:11], 2
	s_and_b32 s15, s15, 3
	s_add_u32 s16, s36, s14
	s_addc_u32 s17, s37, s15
	s_add_u32 s14, s56, s14
	s_addc_u32 s15, s57, s15
	global_load_dword v2, v0, s[16:17]
	global_load_dword v1, v0, s[14:15]
	s_mov_b64 s[16:17], s[12:13]
	s_mov_b64 s[18:19], s[8:9]
	;; [unrolled: 1-line block ×3, first 2 shown]
	s_branch .LBB35_36
.LBB35_35:                              ;   in Loop: Header=BB35_36 Depth=2
	global_load_dword v4, v0, s[18:19] offset:-2804
	s_add_u32 s30, s18, 0xfffff50c
	s_addc_u32 s31, s19, -1
	s_add_u32 s22, s14, 0xfffffd43
	s_addc_u32 s23, s15, -1
	global_store_dword v0, v3, s[16:17] offset:2804
	s_add_u32 s16, s16, 0xfffff50c
	s_addc_u32 s17, s17, -1
	s_cmpk_lt_i32 s14, 0x57a
	s_mov_b64 s[20:21], 0
	s_mov_b64 s[14:15], s[22:23]
	s_cselect_b64 s[24:25], -1, 0
	s_waitcnt vmcnt(1)
	global_store_dword v0, v4, s[18:19]
	s_mov_b64 s[18:19], s[30:31]
	s_andn2_b64 vcc, exec, s[24:25]
	s_cbranch_vccz .LBB35_38
.LBB35_36:                              ;   Parent Loop BB35_34 Depth=1
                                        ; =>  This Inner Loop Header: Depth=2
	global_load_dword v3, v0, s[16:17]
	s_mov_b64 s[20:21], -1
	s_waitcnt vmcnt(0)
	v_cmp_nlt_f32_e32 vcc, v3, v2
	s_cbranch_vccz .LBB35_35
; %bb.37:                               ;   in Loop: Header=BB35_34 Depth=1
                                        ; implicit-def: $sgpr18_sgpr19
                                        ; implicit-def: $sgpr16_sgpr17
                                        ; implicit-def: $sgpr22_sgpr23
.LBB35_38:                              ;   in Loop: Header=BB35_34 Depth=1
	s_andn2_b64 vcc, exec, s[20:21]
	s_cbranch_vccz .LBB35_33
; %bb.39:                               ;   in Loop: Header=BB35_34 Depth=1
	s_bfe_i64 s[14:15], s[22:23], 0x200000
	s_branch .LBB35_33
.LBB35_40:
	s_branch .LBB35_237
.LBB35_41:
	s_mov_b64 s[58:59], 0
	s_cbranch_execnz .LBB35_144
	s_branch .LBB35_232
.LBB35_42:
	s_cmpk_lt_i32 s48, 0x12e
	s_cbranch_scc1 .LBB35_51
; %bb.43:
	s_add_u32 s8, s56, 0x4b4
	s_addc_u32 s9, s57, 0
	s_mov_b64 s[10:11], 0x12d
	v_mov_b32_e32 v0, 0
	s_mov_b64 s[12:13], s[36:37]
	s_branch .LBB35_45
.LBB35_44:                              ;   in Loop: Header=BB35_45 Depth=1
	s_lshl_b64 s[14:15], s[14:15], 2
	s_add_u32 s16, s36, s14
	s_addc_u32 s17, s37, s15
	s_add_u32 s14, s56, s14
	s_addc_u32 s15, s57, s15
	;; [unrolled: 2-line block ×5, first 2 shown]
	s_cmp_lg_u32 s10, s48
	global_store_dword v0, v2, s[16:17]
	global_store_dword v0, v1, s[14:15]
	s_cbranch_scc0 .LBB35_51
.LBB35_45:                              ; =>This Loop Header: Depth=1
                                        ;     Child Loop BB35_47 Depth 2
	s_lshl_b64 s[14:15], s[10:11], 2
	s_and_b32 s15, s15, 3
	s_add_u32 s16, s36, s14
	s_addc_u32 s17, s37, s15
	s_add_u32 s14, s56, s14
	s_addc_u32 s15, s57, s15
	global_load_dword v2, v0, s[16:17]
	global_load_dword v1, v0, s[14:15]
	s_mov_b64 s[16:17], s[12:13]
	s_mov_b64 s[18:19], s[8:9]
	;; [unrolled: 1-line block ×3, first 2 shown]
	s_branch .LBB35_47
.LBB35_46:                              ;   in Loop: Header=BB35_47 Depth=2
	global_load_dword v4, v0, s[18:19] offset:-1204
	s_add_u32 s30, s18, 0xfffffb4c
	s_addc_u32 s31, s19, -1
	s_add_u32 s22, s14, 0xfffffed3
	s_addc_u32 s23, s15, -1
	global_store_dword v0, v3, s[16:17] offset:1204
	s_add_u32 s16, s16, 0xfffffb4c
	s_addc_u32 s17, s17, -1
	s_cmpk_lt_i32 s14, 0x25a
	s_mov_b64 s[20:21], 0
	s_mov_b64 s[14:15], s[22:23]
	s_cselect_b64 s[24:25], -1, 0
	s_waitcnt vmcnt(1)
	global_store_dword v0, v4, s[18:19]
	s_mov_b64 s[18:19], s[30:31]
	s_andn2_b64 vcc, exec, s[24:25]
	s_cbranch_vccz .LBB35_49
.LBB35_47:                              ;   Parent Loop BB35_45 Depth=1
                                        ; =>  This Inner Loop Header: Depth=2
	global_load_dword v3, v0, s[16:17]
	s_mov_b64 s[20:21], -1
	s_waitcnt vmcnt(0)
	v_cmp_nlt_f32_e32 vcc, v3, v2
	s_cbranch_vccz .LBB35_46
; %bb.48:                               ;   in Loop: Header=BB35_45 Depth=1
                                        ; implicit-def: $sgpr18_sgpr19
                                        ; implicit-def: $sgpr16_sgpr17
                                        ; implicit-def: $sgpr22_sgpr23
.LBB35_49:                              ;   in Loop: Header=BB35_45 Depth=1
	s_andn2_b64 vcc, exec, s[20:21]
	s_cbranch_vccz .LBB35_44
; %bb.50:                               ;   in Loop: Header=BB35_45 Depth=1
	s_bfe_i64 s[14:15], s[22:23], 0x200000
	s_branch .LBB35_44
.LBB35_51:
	s_cmpk_lt_i32 s48, 0x85
	s_cbranch_scc1 .LBB35_60
; %bb.52:
	s_add_u32 s8, s56, 0x210
	s_addc_u32 s9, s57, 0
	s_mov_b64 s[10:11], 0x84
	v_mov_b32_e32 v0, 0
	s_mov_b64 s[12:13], s[36:37]
	s_branch .LBB35_54
.LBB35_53:                              ;   in Loop: Header=BB35_54 Depth=1
	s_lshl_b64 s[14:15], s[14:15], 2
	s_add_u32 s16, s36, s14
	s_addc_u32 s17, s37, s15
	s_add_u32 s14, s56, s14
	s_addc_u32 s15, s57, s15
	;; [unrolled: 2-line block ×5, first 2 shown]
	s_cmp_lg_u32 s10, s48
	global_store_dword v0, v2, s[16:17]
	global_store_dword v0, v1, s[14:15]
	s_cbranch_scc0 .LBB35_60
.LBB35_54:                              ; =>This Loop Header: Depth=1
                                        ;     Child Loop BB35_56 Depth 2
	s_lshl_b64 s[14:15], s[10:11], 2
	s_and_b32 s15, s15, 3
	s_add_u32 s16, s36, s14
	s_addc_u32 s17, s37, s15
	s_add_u32 s14, s56, s14
	s_addc_u32 s15, s57, s15
	global_load_dword v2, v0, s[16:17]
	global_load_dword v1, v0, s[14:15]
	s_mov_b64 s[16:17], s[12:13]
	s_mov_b64 s[18:19], s[8:9]
	;; [unrolled: 1-line block ×3, first 2 shown]
	s_branch .LBB35_56
.LBB35_55:                              ;   in Loop: Header=BB35_56 Depth=2
	global_load_dword v4, v0, s[18:19] offset:-528
	s_add_u32 s30, s18, 0xfffffdf0
	s_addc_u32 s31, s19, -1
	s_add_u32 s22, s14, 0xffffff7c
	s_addc_u32 s23, s15, -1
	global_store_dword v0, v3, s[16:17] offset:528
	s_add_u32 s16, s16, 0xfffffdf0
	s_addc_u32 s17, s17, -1
	s_cmpk_lt_i32 s14, 0x108
	s_mov_b64 s[20:21], 0
	s_mov_b64 s[14:15], s[22:23]
	s_cselect_b64 s[24:25], -1, 0
	s_waitcnt vmcnt(1)
	global_store_dword v0, v4, s[18:19]
	s_mov_b64 s[18:19], s[30:31]
	s_andn2_b64 vcc, exec, s[24:25]
	s_cbranch_vccz .LBB35_58
.LBB35_56:                              ;   Parent Loop BB35_54 Depth=1
                                        ; =>  This Inner Loop Header: Depth=2
	global_load_dword v3, v0, s[16:17]
	s_mov_b64 s[20:21], -1
	s_waitcnt vmcnt(0)
	v_cmp_nlt_f32_e32 vcc, v3, v2
	s_cbranch_vccz .LBB35_55
; %bb.57:                               ;   in Loop: Header=BB35_54 Depth=1
                                        ; implicit-def: $sgpr18_sgpr19
                                        ; implicit-def: $sgpr16_sgpr17
                                        ; implicit-def: $sgpr22_sgpr23
.LBB35_58:                              ;   in Loop: Header=BB35_54 Depth=1
	s_andn2_b64 vcc, exec, s[20:21]
	s_cbranch_vccz .LBB35_53
; %bb.59:                               ;   in Loop: Header=BB35_54 Depth=1
	s_bfe_i64 s[14:15], s[22:23], 0x200000
	s_branch .LBB35_53
.LBB35_60:
	s_cmp_lt_i32 s48, 58
	s_cbranch_scc1 .LBB35_69
; %bb.61:
	s_add_u32 s8, s56, 0xe4
	s_addc_u32 s9, s57, 0
	s_mov_b64 s[10:11], 57
	v_mov_b32_e32 v0, 0
	s_mov_b64 s[12:13], s[36:37]
	s_branch .LBB35_63
.LBB35_62:                              ;   in Loop: Header=BB35_63 Depth=1
	s_lshl_b64 s[14:15], s[14:15], 2
	s_add_u32 s16, s36, s14
	s_addc_u32 s17, s37, s15
	s_add_u32 s14, s56, s14
	s_addc_u32 s15, s57, s15
	s_add_u32 s10, s10, 1
	s_addc_u32 s11, s11, 0
	s_add_u32 s8, s8, 4
	s_addc_u32 s9, s9, 0
	s_add_u32 s12, s12, 4
	s_addc_u32 s13, s13, 0
	s_cmp_lg_u32 s10, s48
	global_store_dword v0, v2, s[16:17]
	global_store_dword v0, v1, s[14:15]
	s_cbranch_scc0 .LBB35_69
.LBB35_63:                              ; =>This Loop Header: Depth=1
                                        ;     Child Loop BB35_65 Depth 2
	s_lshl_b64 s[14:15], s[10:11], 2
	s_and_b32 s15, s15, 3
	s_add_u32 s16, s36, s14
	s_addc_u32 s17, s37, s15
	s_add_u32 s14, s56, s14
	s_addc_u32 s15, s57, s15
	global_load_dword v2, v0, s[16:17]
	global_load_dword v1, v0, s[14:15]
	s_mov_b64 s[16:17], s[12:13]
	s_mov_b64 s[18:19], s[8:9]
	s_mov_b64 s[14:15], s[10:11]
	s_branch .LBB35_65
.LBB35_64:                              ;   in Loop: Header=BB35_65 Depth=2
	global_load_dword v4, v0, s[18:19] offset:-228
	s_add_u32 s30, s18, 0xffffff1c
	s_addc_u32 s31, s19, -1
	s_add_u32 s22, s14, 0xffffffc7
	s_addc_u32 s23, s15, -1
	global_store_dword v0, v3, s[16:17] offset:228
	s_add_u32 s16, s16, 0xffffff1c
	s_addc_u32 s17, s17, -1
	s_cmpk_lt_i32 s14, 0x72
	s_mov_b64 s[20:21], 0
	s_mov_b64 s[14:15], s[22:23]
	s_cselect_b64 s[24:25], -1, 0
	s_waitcnt vmcnt(1)
	global_store_dword v0, v4, s[18:19]
	s_mov_b64 s[18:19], s[30:31]
	s_andn2_b64 vcc, exec, s[24:25]
	s_cbranch_vccz .LBB35_67
.LBB35_65:                              ;   Parent Loop BB35_63 Depth=1
                                        ; =>  This Inner Loop Header: Depth=2
	global_load_dword v3, v0, s[16:17]
	s_mov_b64 s[20:21], -1
	s_waitcnt vmcnt(0)
	v_cmp_nlt_f32_e32 vcc, v3, v2
	s_cbranch_vccz .LBB35_64
; %bb.66:                               ;   in Loop: Header=BB35_63 Depth=1
                                        ; implicit-def: $sgpr18_sgpr19
                                        ; implicit-def: $sgpr16_sgpr17
                                        ; implicit-def: $sgpr22_sgpr23
.LBB35_67:                              ;   in Loop: Header=BB35_63 Depth=1
	s_andn2_b64 vcc, exec, s[20:21]
	s_cbranch_vccz .LBB35_62
; %bb.68:                               ;   in Loop: Header=BB35_63 Depth=1
	s_bfe_i64 s[14:15], s[22:23], 0x200000
	s_branch .LBB35_62
.LBB35_69:
	s_cmp_lt_i32 s48, 24
	s_cbranch_scc1 .LBB35_78
; %bb.70:
	s_add_u32 s8, s56, 0x5c
	s_addc_u32 s9, s57, 0
	s_mov_b64 s[10:11], 23
	v_mov_b32_e32 v0, 0
	s_mov_b64 s[12:13], s[36:37]
	s_branch .LBB35_72
.LBB35_71:                              ;   in Loop: Header=BB35_72 Depth=1
	s_lshl_b64 s[14:15], s[14:15], 2
	s_add_u32 s16, s36, s14
	s_addc_u32 s17, s37, s15
	s_add_u32 s14, s56, s14
	s_addc_u32 s15, s57, s15
	;; [unrolled: 2-line block ×5, first 2 shown]
	s_cmp_lg_u32 s10, s48
	global_store_dword v0, v2, s[16:17]
	global_store_dword v0, v1, s[14:15]
	s_cbranch_scc0 .LBB35_78
.LBB35_72:                              ; =>This Loop Header: Depth=1
                                        ;     Child Loop BB35_74 Depth 2
	s_lshl_b64 s[14:15], s[10:11], 2
	s_and_b32 s15, s15, 3
	s_add_u32 s16, s36, s14
	s_addc_u32 s17, s37, s15
	s_add_u32 s14, s56, s14
	s_addc_u32 s15, s57, s15
	global_load_dword v2, v0, s[16:17]
	global_load_dword v1, v0, s[14:15]
	s_mov_b64 s[16:17], s[12:13]
	s_mov_b64 s[18:19], s[8:9]
	s_mov_b64 s[14:15], s[10:11]
	s_branch .LBB35_74
.LBB35_73:                              ;   in Loop: Header=BB35_74 Depth=2
	global_load_dword v4, v0, s[18:19] offset:-92
	s_add_u32 s30, s18, 0xffffffa4
	s_addc_u32 s31, s19, -1
	s_add_u32 s22, s14, 0xffffffe9
	s_addc_u32 s23, s15, -1
	global_store_dword v0, v3, s[16:17] offset:92
	s_add_u32 s16, s16, 0xffffffa4
	s_addc_u32 s17, s17, -1
	s_cmp_lt_i32 s14, 46
	s_mov_b64 s[20:21], 0
	s_mov_b64 s[14:15], s[22:23]
	s_cselect_b64 s[24:25], -1, 0
	s_waitcnt vmcnt(1)
	global_store_dword v0, v4, s[18:19]
	s_mov_b64 s[18:19], s[30:31]
	s_andn2_b64 vcc, exec, s[24:25]
	s_cbranch_vccz .LBB35_76
.LBB35_74:                              ;   Parent Loop BB35_72 Depth=1
                                        ; =>  This Inner Loop Header: Depth=2
	global_load_dword v3, v0, s[16:17]
	s_mov_b64 s[20:21], -1
	s_waitcnt vmcnt(0)
	v_cmp_nlt_f32_e32 vcc, v3, v2
	s_cbranch_vccz .LBB35_73
; %bb.75:                               ;   in Loop: Header=BB35_72 Depth=1
                                        ; implicit-def: $sgpr18_sgpr19
                                        ; implicit-def: $sgpr16_sgpr17
                                        ; implicit-def: $sgpr22_sgpr23
.LBB35_76:                              ;   in Loop: Header=BB35_72 Depth=1
	s_andn2_b64 vcc, exec, s[20:21]
	s_cbranch_vccz .LBB35_71
; %bb.77:                               ;   in Loop: Header=BB35_72 Depth=1
	s_bfe_i64 s[14:15], s[22:23], 0x200000
	s_branch .LBB35_71
.LBB35_78:
	s_cmp_lt_i32 s48, 11
	s_cbranch_scc1 .LBB35_87
; %bb.79:
	s_add_u32 s8, s56, 40
	s_addc_u32 s9, s57, 0
	s_mov_b64 s[10:11], 10
	v_mov_b32_e32 v0, 0
	s_mov_b64 s[12:13], s[36:37]
	s_branch .LBB35_81
.LBB35_80:                              ;   in Loop: Header=BB35_81 Depth=1
	s_lshl_b64 s[14:15], s[14:15], 2
	s_add_u32 s16, s36, s14
	s_addc_u32 s17, s37, s15
	s_add_u32 s14, s56, s14
	s_addc_u32 s15, s57, s15
	;; [unrolled: 2-line block ×5, first 2 shown]
	s_cmp_lg_u32 s10, s48
	global_store_dword v0, v2, s[16:17]
	global_store_dword v0, v1, s[14:15]
	s_cbranch_scc0 .LBB35_87
.LBB35_81:                              ; =>This Loop Header: Depth=1
                                        ;     Child Loop BB35_83 Depth 2
	s_lshl_b64 s[14:15], s[10:11], 2
	s_and_b32 s15, s15, 3
	s_add_u32 s16, s36, s14
	s_addc_u32 s17, s37, s15
	s_add_u32 s14, s56, s14
	s_addc_u32 s15, s57, s15
	global_load_dword v2, v0, s[16:17]
	global_load_dword v1, v0, s[14:15]
	s_mov_b64 s[16:17], s[12:13]
	s_mov_b64 s[18:19], s[8:9]
	;; [unrolled: 1-line block ×3, first 2 shown]
	s_branch .LBB35_83
.LBB35_82:                              ;   in Loop: Header=BB35_83 Depth=2
	global_load_dword v4, v0, s[18:19] offset:-40
	s_add_u32 s30, s18, 0xffffffd8
	s_addc_u32 s31, s19, -1
	s_add_u32 s22, s14, -10
	s_addc_u32 s23, s15, -1
	global_store_dword v0, v3, s[16:17] offset:40
	s_add_u32 s16, s16, 0xffffffd8
	s_addc_u32 s17, s17, -1
	s_cmp_lt_i32 s14, 20
	s_mov_b64 s[20:21], 0
	s_mov_b64 s[14:15], s[22:23]
	s_cselect_b64 s[24:25], -1, 0
	s_waitcnt vmcnt(1)
	global_store_dword v0, v4, s[18:19]
	s_mov_b64 s[18:19], s[30:31]
	s_andn2_b64 vcc, exec, s[24:25]
	s_cbranch_vccz .LBB35_85
.LBB35_83:                              ;   Parent Loop BB35_81 Depth=1
                                        ; =>  This Inner Loop Header: Depth=2
	global_load_dword v3, v0, s[16:17]
	s_mov_b64 s[20:21], -1
	s_waitcnt vmcnt(0)
	v_cmp_nlt_f32_e32 vcc, v3, v2
	s_cbranch_vccz .LBB35_82
; %bb.84:                               ;   in Loop: Header=BB35_81 Depth=1
                                        ; implicit-def: $sgpr18_sgpr19
                                        ; implicit-def: $sgpr16_sgpr17
                                        ; implicit-def: $sgpr22_sgpr23
.LBB35_85:                              ;   in Loop: Header=BB35_81 Depth=1
	s_andn2_b64 vcc, exec, s[20:21]
	s_cbranch_vccz .LBB35_80
; %bb.86:                               ;   in Loop: Header=BB35_81 Depth=1
	s_bfe_i64 s[14:15], s[22:23], 0x200000
	s_branch .LBB35_80
.LBB35_87:
	s_cmp_lt_i32 s48, 5
	s_cbranch_scc1 .LBB35_96
; %bb.88:
	s_add_u32 s8, s56, 16
	s_addc_u32 s9, s57, 0
	s_add_u32 s10, s54, s52
	s_addc_u32 s11, s55, s53
	s_add_u32 s10, s10, 16
	s_addc_u32 s11, s11, 0
	s_mov_b64 s[12:13], 4
	v_mov_b32_e32 v0, 0
	s_branch .LBB35_90
.LBB35_89:                              ;   in Loop: Header=BB35_90 Depth=1
	s_lshl_b64 s[14:15], s[14:15], 2
	s_add_u32 s16, s36, s14
	s_addc_u32 s17, s37, s15
	s_add_u32 s14, s56, s14
	s_addc_u32 s15, s57, s15
	;; [unrolled: 2-line block ×5, first 2 shown]
	s_cmp_lg_u32 s12, s48
	global_store_dword v0, v2, s[16:17]
	global_store_dword v0, v1, s[14:15]
	s_cbranch_scc0 .LBB35_96
.LBB35_90:                              ; =>This Loop Header: Depth=1
                                        ;     Child Loop BB35_92 Depth 2
	s_lshl_b64 s[14:15], s[12:13], 2
	s_and_b32 s15, s15, 3
	s_add_u32 s16, s36, s14
	s_addc_u32 s17, s37, s15
	s_add_u32 s14, s56, s14
	s_addc_u32 s15, s57, s15
	global_load_dword v2, v0, s[16:17]
	global_load_dword v1, v0, s[14:15]
	s_mov_b64 s[18:19], s[10:11]
	s_mov_b64 s[16:17], s[8:9]
	;; [unrolled: 1-line block ×3, first 2 shown]
	s_branch .LBB35_92
.LBB35_91:                              ;   in Loop: Header=BB35_92 Depth=2
	global_load_dword v4, v0, s[16:17] offset:-16
	s_mov_b64 s[20:21], 0
	global_store_dword v0, v3, s[18:19]
	s_add_u32 s18, s16, -16
	s_addc_u32 s19, s17, -1
	s_add_u32 s22, s14, -4
	s_addc_u32 s23, s15, -1
	s_cmp_lt_i32 s14, 8
	s_mov_b64 s[14:15], s[22:23]
	s_cselect_b64 s[30:31], -1, 0
	s_waitcnt vmcnt(1)
	global_store_dword v0, v4, s[16:17]
	s_mov_b64 s[16:17], s[18:19]
	s_mov_b64 s[18:19], s[24:25]
	s_andn2_b64 vcc, exec, s[30:31]
	s_cbranch_vccz .LBB35_94
.LBB35_92:                              ;   Parent Loop BB35_90 Depth=1
                                        ; =>  This Inner Loop Header: Depth=2
	global_load_dword v3, v0, s[18:19] offset:-16
	s_add_u32 s24, s18, -16
	s_addc_u32 s25, s19, -1
	s_mov_b64 s[20:21], -1
	s_waitcnt vmcnt(0)
	v_cmp_nlt_f32_e32 vcc, v3, v2
	s_cbranch_vccz .LBB35_91
; %bb.93:                               ;   in Loop: Header=BB35_90 Depth=1
                                        ; implicit-def: $sgpr16_sgpr17
                                        ; implicit-def: $sgpr18_sgpr19
                                        ; implicit-def: $sgpr22_sgpr23
.LBB35_94:                              ;   in Loop: Header=BB35_90 Depth=1
	s_andn2_b64 vcc, exec, s[20:21]
	s_cbranch_vccz .LBB35_89
; %bb.95:                               ;   in Loop: Header=BB35_90 Depth=1
	s_bfe_i64 s[14:15], s[22:23], 0x200000
	s_branch .LBB35_89
.LBB35_96:
	s_cmp_lt_i32 s48, 2
	s_cbranch_scc1 .LBB35_103
; %bb.97:
	s_add_u32 s8, s56, 4
	s_addc_u32 s9, s57, 0
	s_add_u32 s10, s54, s52
	s_addc_u32 s11, s55, s53
	;; [unrolled: 2-line block ×3, first 2 shown]
	s_mov_b64 s[12:13], 1
	v_mov_b32_e32 v0, 0
	s_branch .LBB35_99
.LBB35_98:                              ;   in Loop: Header=BB35_99 Depth=1
	s_lshl_b64 s[14:15], s[22:23], 2
	s_add_u32 s16, s36, s14
	s_addc_u32 s17, s37, s15
	s_add_u32 s14, s56, s14
	s_addc_u32 s15, s57, s15
	;; [unrolled: 2-line block ×5, first 2 shown]
	s_cmp_eq_u32 s12, s48
	global_store_dword v0, v2, s[16:17]
	global_store_dword v0, v1, s[14:15]
	s_cbranch_scc1 .LBB35_103
.LBB35_99:                              ; =>This Loop Header: Depth=1
                                        ;     Child Loop BB35_101 Depth 2
	s_lshl_b64 s[14:15], s[12:13], 2
	s_and_b32 s15, s15, 3
	s_add_u32 s16, s36, s14
	s_addc_u32 s17, s37, s15
	s_add_u32 s14, s56, s14
	s_addc_u32 s15, s57, s15
	global_load_dword v2, v0, s[16:17]
	global_load_dword v1, v0, s[14:15]
	s_mov_b64 s[18:19], s[10:11]
	s_mov_b64 s[14:15], s[8:9]
	;; [unrolled: 1-line block ×3, first 2 shown]
	s_branch .LBB35_101
.LBB35_100:                             ;   in Loop: Header=BB35_101 Depth=2
	global_load_dword v4, v0, s[14:15] offset:-4
	s_mov_b64 s[22:23], 0
	global_store_dword v0, v3, s[18:19]
	s_add_u32 s18, s14, -4
	s_addc_u32 s19, s15, -1
	s_add_u32 s24, s16, -1
	s_addc_u32 s25, s17, -1
	s_cmp_lt_i32 s16, 2
	s_mov_b64 s[16:17], s[24:25]
	s_cselect_b64 s[24:25], -1, 0
	s_waitcnt vmcnt(1)
	global_store_dword v0, v4, s[14:15]
	s_mov_b64 s[14:15], s[18:19]
	s_mov_b64 s[18:19], s[20:21]
	s_andn2_b64 vcc, exec, s[24:25]
	s_cbranch_vccz .LBB35_98
.LBB35_101:                             ;   Parent Loop BB35_99 Depth=1
                                        ; =>  This Inner Loop Header: Depth=2
	global_load_dword v3, v0, s[18:19] offset:-4
	s_add_u32 s20, s18, -4
	s_addc_u32 s21, s19, -1
	s_mov_b64 s[24:25], -1
	s_waitcnt vmcnt(0)
	v_cmp_nlt_f32_e32 vcc, v3, v2
	s_cbranch_vccz .LBB35_100
; %bb.102:                              ;   in Loop: Header=BB35_101 Depth=2
                                        ; implicit-def: $sgpr14_sgpr15
                                        ; implicit-def: $sgpr18_sgpr19
	s_mov_b64 s[22:23], s[16:17]
	s_andn2_b64 vcc, exec, s[24:25]
	s_cbranch_vccnz .LBB35_101
	s_branch .LBB35_98
.LBB35_103:
	s_or_b64 exec, exec, s[6:7]
	s_cmp_lt_i32 s48, 2
	s_cselect_b64 s[10:11], -1, 0
	s_mov_b64 s[66:67], 0
	s_and_b64 vcc, exec, s[10:11]
	s_barrier
	s_cbranch_vccnz .LBB35_111
; %bb.104:
	s_add_i32 s20, s48, -1
	v_cmp_gt_u32_e32 vcc, s20, v41
	s_mov_b64 s[10:11], -1
	s_mov_b64 s[6:7], 0
	s_and_saveexec_b64 s[8:9], vcc
	s_cbranch_execz .LBB35_113
; %bb.105:
	s_add_u32 s21, s36, 4
	s_addc_u32 s22, s37, 0
	s_mov_b64 s[10:11], 0
	v_mov_b32_e32 v1, 0
	v_mov_b32_e32 v2, s37
	;; [unrolled: 1-line block ×3, first 2 shown]
                                        ; implicit-def: $sgpr12_sgpr13
	s_branch .LBB35_107
.LBB35_106:                             ;   in Loop: Header=BB35_107 Depth=1
	s_or_b64 exec, exec, s[18:19]
	s_xor_b64 s[14:15], s[14:15], -1
	s_and_b64 s[6:7], exec, s[6:7]
	s_or_b64 s[10:11], s[6:7], s[10:11]
	s_andn2_b64 s[6:7], s[12:13], exec
	s_and_b64 s[12:13], s[14:15], exec
	s_or_b64 s[12:13], s[6:7], s[12:13]
	s_andn2_b64 exec, exec, s[10:11]
	s_cbranch_execz .LBB35_112
.LBB35_107:                             ; =>This Inner Loop Header: Depth=1
	v_lshlrev_b64 v[4:5], 2, v[0:1]
	v_add_co_u32_e32 v4, vcc, s36, v4
	v_addc_co_u32_e32 v5, vcc, v2, v5, vcc
	global_load_dword v3, v[4:5], off
                                        ; implicit-def: $sgpr14_sgpr15
	s_waitcnt vmcnt(0)
	v_cmp_u_f32_e64 s[16:17], v3, v3
	v_cmp_o_f32_e32 vcc, v3, v3
	s_and_saveexec_b64 s[18:19], vcc
	s_cbranch_execz .LBB35_109
; %bb.108:                              ;   in Loop: Header=BB35_107 Depth=1
	v_ashrrev_i32_e32 v5, 31, v0
	v_mov_b32_e32 v4, v0
	v_lshlrev_b64 v[4:5], 2, v[4:5]
	v_mov_b32_e32 v6, s22
	v_add_co_u32_e32 v4, vcc, s21, v4
	v_addc_co_u32_e32 v5, vcc, v6, v5, vcc
	global_load_dword v4, v[4:5], off
	s_andn2_b64 s[16:17], s[16:17], exec
	s_mov_b64 s[14:15], -1
	s_waitcnt vmcnt(0)
	v_cmp_u_f32_e32 vcc, v4, v4
	v_cmp_ge_f32_e64 s[6:7], v3, v4
	s_or_b64 s[6:7], vcc, s[6:7]
	s_and_b64 s[6:7], s[6:7], exec
	s_or_b64 s[16:17], s[16:17], s[6:7]
.LBB35_109:                             ;   in Loop: Header=BB35_107 Depth=1
	s_or_b64 exec, exec, s[18:19]
	s_mov_b64 s[6:7], -1
	s_and_saveexec_b64 s[18:19], s[16:17]
	s_cbranch_execz .LBB35_106
; %bb.110:                              ;   in Loop: Header=BB35_107 Depth=1
	v_add_u32_e32 v0, s60, v0
	v_cmp_le_u32_e32 vcc, s20, v0
	s_andn2_b64 s[14:15], s[14:15], exec
	s_orn2_b64 s[6:7], vcc, exec
	s_branch .LBB35_106
.LBB35_111:
	s_mov_b64 s[6:7], 0
	s_branch .LBB35_114
.LBB35_112:
	s_or_b64 exec, exec, s[10:11]
	s_mov_b64 s[6:7], exec
	s_orn2_b64 s[10:11], s[12:13], exec
.LBB35_113:
	s_or_b64 exec, exec, s[8:9]
.LBB35_114:
	s_and_saveexec_b64 s[8:9], s[10:11]
	s_cbranch_execz .LBB35_116
; %bb.115:
	s_mov_b64 s[66:67], exec
	s_barrier
	s_andn2_b64 s[6:7], s[6:7], exec
.LBB35_116:
	s_or_b64 exec, exec, s[8:9]
	s_mov_b64 s[62:63], 0
	s_and_saveexec_b64 s[68:69], s[6:7]
	s_cbranch_execz .LBB35_118
; %bb.117:
	s_add_u32 s8, s4, 0x90
	s_addc_u32 s9, s5, 0
	s_getpc_b64 s[6:7]
	s_add_u32 s6, s6, __PRETTY_FUNCTION__._ZN9rocsolver6v33100L21shell_sort_descendingIfiEEvT0_PT_PS2_@rel32@lo+4
	s_addc_u32 s7, s7, __PRETTY_FUNCTION__._ZN9rocsolver6v33100L21shell_sort_descendingIfiEEvT0_PT_PS2_@rel32@hi+12
	v_mov_b32_e32 v0, s6
	v_mov_b32_e32 v1, s7
	s_getpc_b64 s[10:11]
	s_add_u32 s10, s10, __assert_fail@rel32@lo+4
	s_addc_u32 s11, s11, __assert_fail@rel32@hi+12
	s_mov_b64 s[62:63], s[4:5]
	s_swappc_b64 s[30:31], s[10:11]
	s_mov_b64 s[4:5], s[62:63]
	s_mov_b64 s[62:63], exec
.LBB35_118:
	s_or_b64 exec, exec, s[68:69]
.LBB35_119:
	s_and_saveexec_b64 s[20:21], s[66:67]
	s_cbranch_execz .LBB35_143
; %bb.120:
	s_andn2_b64 vcc, exec, s[64:65]
	s_barrier
	s_cbranch_vccnz .LBB35_142
; %bb.121:
	s_cmp_gt_i32 s49, 0
	s_cselect_b64 s[14:15], -1, 0
	s_ashr_i32 s33, s47, 31
	s_cmp_gt_i32 s50, 0
	s_cselect_b64 s[16:17], -1, 0
	s_cmp_gt_i32 s51, 0
	v_cndmask_b32_e64 v0, 0, 1, s[14:15]
	s_cselect_b64 s[18:19], -1, 0
	v_cmp_ne_u32_e64 s[14:15], 1, v0
	v_cndmask_b32_e64 v0, 0, 1, s[16:17]
	s_mov_b32 s23, 0
	v_cmp_ne_u32_e64 s[16:17], 1, v0
	v_cndmask_b32_e64 v0, 0, 1, s[18:19]
	v_cmp_eq_u32_e64 s[6:7], 0, v41
	v_cmp_gt_u32_e64 s[8:9], s49, v41
	s_mov_b32 s72, s47
	v_cmp_gt_u32_e64 s[10:11], s50, v41
	s_mov_b32 s73, s43
	v_cmp_gt_u32_e64 s[12:13], s51, v41
	s_ashr_i32 s74, s61, 31
	s_mov_b32 s75, s61
	v_mov_b32_e32 v1, 0
	v_cmp_ne_u32_e64 s[18:19], 1, v0
	s_mov_b32 s22, s23
	s_branch .LBB35_123
.LBB35_122:                             ;   in Loop: Header=BB35_123 Depth=1
	s_add_i32 s22, s22, 1
	s_cmp_eq_u32 s22, s48
	s_cbranch_scc1 .LBB35_142
.LBB35_123:                             ; =>This Loop Header: Depth=1
                                        ;     Child Loop BB35_126 Depth 2
                                        ;       Child Loop BB35_131 Depth 3
                                        ;       Child Loop BB35_136 Depth 3
	;; [unrolled: 1-line block ×3, first 2 shown]
	s_lshl_b64 s[24:25], s[22:23], 2
	s_add_u32 s24, s56, s24
	s_addc_u32 s25, s57, s25
	global_load_dword v0, v1, s[24:25]
	s_waitcnt vmcnt(0)
	v_cmp_eq_u32_e32 vcc, s22, v0
	v_readfirstlane_b32 s30, v0
	s_cbranch_vccz .LBB35_126
	s_branch .LBB35_122
.LBB35_124:                             ;   in Loop: Header=BB35_126 Depth=2
	s_or_b64 exec, exec, s[64:65]
	s_waitcnt lgkmcnt(0)
	s_barrier
.LBB35_125:                             ;   in Loop: Header=BB35_126 Depth=2
	global_load_dword v0, v1, s[24:25]
	s_waitcnt vmcnt(0)
	v_cmp_ne_u32_e32 vcc, s22, v0
	v_readfirstlane_b32 s30, v0
	s_cbranch_vccz .LBB35_122
.LBB35_126:                             ;   Parent Loop BB35_123 Depth=1
                                        ; =>  This Loop Header: Depth=2
                                        ;       Child Loop BB35_131 Depth 3
                                        ;       Child Loop BB35_136 Depth 3
	;; [unrolled: 1-line block ×3, first 2 shown]
	s_ashr_i32 s31, s30, 31
	s_lshl_b64 s[58:59], s[30:31], 2
	s_add_u32 s64, s56, s58
	s_addc_u32 s65, s57, s59
	global_load_dword v0, v1, s[64:65]
	s_barrier
	s_waitcnt vmcnt(0)
	v_readfirstlane_b32 s58, v0
	s_and_saveexec_b64 s[66:67], s[6:7]
	s_cbranch_execz .LBB35_128
; %bb.127:                              ;   in Loop: Header=BB35_126 Depth=2
	v_mov_b32_e32 v0, s30
	global_store_dword v1, v0, s[64:65]
	v_mov_b32_e32 v0, s58
	global_store_dword v1, v0, s[24:25]
.LBB35_128:                             ;   in Loop: Header=BB35_126 Depth=2
	s_or_b64 exec, exec, s[66:67]
	s_and_b64 vcc, exec, s[14:15]
	s_barrier
	s_cbranch_vccnz .LBB35_133
; %bb.129:                              ;   in Loop: Header=BB35_126 Depth=2
	s_and_saveexec_b64 s[64:65], s[8:9]
	s_cbranch_execz .LBB35_132
; %bb.130:                              ;   in Loop: Header=BB35_126 Depth=2
	s_ashr_i32 s59, s58, 31
	s_mov_b64 s[66:67], 0
	s_lshl_b64 s[68:69], s[30:31], 3
	s_lshl_b64 s[70:71], s[58:59], 3
	v_mov_b32_e32 v0, v41
.LBB35_131:                             ;   Parent Loop BB35_123 Depth=1
                                        ;     Parent Loop BB35_126 Depth=2
                                        ; =>    This Inner Loop Header: Depth=3
	v_mad_u64_u32 v[2:3], s[76:77], v0, s72, 0
	v_mov_b32_e32 v4, v3
	v_mad_u64_u32 v[4:5], s[76:77], v0, s33, v[4:5]
	v_mov_b32_e32 v3, v4
	v_lshlrev_b64 v[2:3], 3, v[2:3]
	v_mov_b32_e32 v6, s35
	v_add_co_u32_e32 v4, vcc, s34, v2
	v_addc_co_u32_e32 v5, vcc, v6, v3, vcc
	v_mov_b32_e32 v7, s69
	v_add_co_u32_e32 v2, vcc, s68, v4
	v_addc_co_u32_e32 v3, vcc, v5, v7, vcc
	;; [unrolled: 3-line block ×3, first 2 shown]
	flat_load_dwordx2 v[6:7], v[4:5]
	flat_load_dwordx2 v[8:9], v[2:3]
	v_add_u32_e32 v0, s60, v0
	v_cmp_le_u32_e32 vcc, s49, v0
	s_or_b64 s[66:67], vcc, s[66:67]
	s_waitcnt vmcnt(0) lgkmcnt(0)
	flat_store_dwordx2 v[2:3], v[6:7]
	flat_store_dwordx2 v[4:5], v[8:9]
	s_andn2_b64 exec, exec, s[66:67]
	s_cbranch_execnz .LBB35_131
.LBB35_132:                             ;   in Loop: Header=BB35_126 Depth=2
	s_or_b64 exec, exec, s[64:65]
	s_waitcnt lgkmcnt(0)
	s_barrier
.LBB35_133:                             ;   in Loop: Header=BB35_126 Depth=2
	s_and_b64 vcc, exec, s[16:17]
	s_cbranch_vccnz .LBB35_138
; %bb.134:                              ;   in Loop: Header=BB35_126 Depth=2
	s_and_saveexec_b64 s[64:65], s[10:11]
	s_cbranch_execz .LBB35_137
; %bb.135:                              ;   in Loop: Header=BB35_126 Depth=2
	s_mul_hi_i32 s67, s30, s73
	s_mul_i32 s66, s30, s73
	s_lshl_b64 s[66:67], s[66:67], 3
	s_add_u32 s59, s28, s66
	s_addc_u32 s69, s29, s67
	s_mul_hi_i32 s67, s58, s73
	s_mul_i32 s66, s58, s73
	s_lshl_b64 s[66:67], s[66:67], 3
	s_add_u32 s68, s28, s66
	s_addc_u32 s70, s29, s67
	s_mov_b64 s[66:67], 0
	v_mov_b32_e32 v2, s69
	v_mov_b32_e32 v3, s70
	;; [unrolled: 1-line block ×3, first 2 shown]
.LBB35_136:                             ;   Parent Loop BB35_123 Depth=1
                                        ;     Parent Loop BB35_126 Depth=2
                                        ; =>    This Inner Loop Header: Depth=3
	v_lshlrev_b64 v[4:5], 3, v[0:1]
	v_add_co_u32_e32 v6, vcc, s59, v4
	v_addc_co_u32_e32 v7, vcc, v2, v5, vcc
	v_add_co_u32_e32 v4, vcc, s68, v4
	v_addc_co_u32_e32 v5, vcc, v3, v5, vcc
	flat_load_dwordx2 v[8:9], v[4:5]
	flat_load_dwordx2 v[10:11], v[6:7]
	v_add_u32_e32 v0, s60, v0
	v_cmp_le_u32_e32 vcc, s50, v0
	s_or_b64 s[66:67], vcc, s[66:67]
	s_waitcnt vmcnt(0) lgkmcnt(0)
	flat_store_dwordx2 v[6:7], v[8:9]
	flat_store_dwordx2 v[4:5], v[10:11]
	s_andn2_b64 exec, exec, s[66:67]
	s_cbranch_execnz .LBB35_136
.LBB35_137:                             ;   in Loop: Header=BB35_126 Depth=2
	s_or_b64 exec, exec, s[64:65]
	s_waitcnt lgkmcnt(0)
	s_barrier
.LBB35_138:                             ;   in Loop: Header=BB35_126 Depth=2
	s_and_b64 vcc, exec, s[18:19]
	s_cbranch_vccnz .LBB35_125
; %bb.139:                              ;   in Loop: Header=BB35_126 Depth=2
	s_and_saveexec_b64 s[64:65], s[12:13]
	s_cbranch_execz .LBB35_124
; %bb.140:                              ;   in Loop: Header=BB35_126 Depth=2
	s_ashr_i32 s59, s58, 31
	s_mov_b64 s[66:67], 0
	s_lshl_b64 s[58:59], s[58:59], 3
	v_mov_b32_e32 v0, v41
.LBB35_141:                             ;   Parent Loop BB35_123 Depth=1
                                        ;     Parent Loop BB35_126 Depth=2
                                        ; =>    This Inner Loop Header: Depth=3
	v_mad_u64_u32 v[2:3], s[68:69], v0, s75, 0
	v_mov_b32_e32 v4, v3
	v_mad_u64_u32 v[4:5], s[70:71], v0, s74, v[4:5]
	v_mov_b32_e32 v3, v4
	v_lshlrev_b64 v[2:3], 3, v[2:3]
	v_mov_b32_e32 v6, s45
	v_add_co_u32_e32 v4, vcc, s44, v2
	s_lshl_b64 s[68:69], s[30:31], 3
	v_addc_co_u32_e32 v5, vcc, v6, v3, vcc
	v_mov_b32_e32 v8, s69
	v_add_co_u32_e32 v2, vcc, s68, v4
	v_addc_co_u32_e32 v3, vcc, v5, v8, vcc
	v_mov_b32_e32 v7, s59
	v_add_co_u32_e32 v4, vcc, s58, v4
	v_addc_co_u32_e32 v5, vcc, v5, v7, vcc
	flat_load_dwordx2 v[6:7], v[4:5]
	flat_load_dwordx2 v[8:9], v[2:3]
	v_add_u32_e32 v0, s60, v0
	v_cmp_le_u32_e32 vcc, s51, v0
	s_or_b64 s[66:67], vcc, s[66:67]
	s_waitcnt vmcnt(0) lgkmcnt(0)
	flat_store_dwordx2 v[2:3], v[6:7]
	flat_store_dwordx2 v[4:5], v[8:9]
	s_andn2_b64 exec, exec, s[66:67]
	s_cbranch_execnz .LBB35_141
	s_branch .LBB35_124
.LBB35_142:
	s_mov_b64 s[58:59], exec
.LBB35_143:
	s_or_b64 exec, exec, s[20:21]
	s_branch .LBB35_232
.LBB35_144:
	s_mov_b64 s[58:59], -1
	s_and_b64 vcc, exec, s[40:41]
	s_cbranch_vccz .LBB35_232
; %bb.145:
	v_or3_b32 v0, v43, v44, v42
	v_cmp_eq_u32_e32 vcc, 0, v0
	s_barrier
	s_barrier
	s_and_saveexec_b64 s[6:7], vcc
	s_cbranch_execz .LBB35_216
; %bb.146:
	s_cmpk_lt_u32 s48, 0x2be
	s_cbranch_scc1 .LBB35_155
; %bb.147:
	s_mov_b64 s[8:9], 0x2bd
	s_mov_b32 s11, 0
	v_mov_b32_e32 v0, 0
	s_mov_b64 s[12:13], s[36:37]
	s_branch .LBB35_149
.LBB35_148:                             ;   in Loop: Header=BB35_149 Depth=1
	s_lshl_b64 s[14:15], s[14:15], 2
	s_add_u32 s14, s36, s14
	s_addc_u32 s15, s37, s15
	s_add_u32 s8, s8, 1
	s_addc_u32 s9, s9, 0
	;; [unrolled: 2-line block ×3, first 2 shown]
	s_cmp_eq_u32 s8, s48
	global_store_dword v0, v1, s[14:15]
	s_cbranch_scc1 .LBB35_155
.LBB35_149:                             ; =>This Loop Header: Depth=1
                                        ;     Child Loop BB35_151 Depth 2
	s_mov_b32 s10, s8
	s_lshl_b64 s[14:15], s[10:11], 2
	s_add_u32 s14, s36, s14
	s_addc_u32 s15, s37, s15
	global_load_dword v1, v0, s[14:15]
	s_mov_b64 s[16:17], s[12:13]
	s_mov_b64 s[14:15], s[8:9]
	s_branch .LBB35_151
.LBB35_150:                             ;   in Loop: Header=BB35_151 Depth=2
	s_add_u32 s18, s14, 0xfffffd43
	s_addc_u32 s19, s15, -1
	global_store_dword v0, v2, s[16:17] offset:2804
	s_add_u32 s16, s16, 0xfffff50c
	s_addc_u32 s17, s17, -1
	s_cmpk_lt_i32 s14, 0x57a
	s_mov_b64 s[20:21], 0
	s_cselect_b64 s[22:23], -1, 0
	s_mov_b64 s[14:15], s[18:19]
	s_andn2_b64 vcc, exec, s[22:23]
	s_cbranch_vccz .LBB35_153
.LBB35_151:                             ;   Parent Loop BB35_149 Depth=1
                                        ; =>  This Inner Loop Header: Depth=2
	global_load_dword v2, v0, s[16:17]
	s_mov_b64 s[20:21], -1
	s_waitcnt vmcnt(0)
	v_cmp_nlt_f32_e32 vcc, v2, v1
	s_cbranch_vccz .LBB35_150
; %bb.152:                              ;   in Loop: Header=BB35_149 Depth=1
                                        ; implicit-def: $sgpr16_sgpr17
                                        ; implicit-def: $sgpr18_sgpr19
.LBB35_153:                             ;   in Loop: Header=BB35_149 Depth=1
	s_andn2_b64 vcc, exec, s[20:21]
	s_cbranch_vccz .LBB35_148
; %bb.154:                              ;   in Loop: Header=BB35_149 Depth=1
	s_bfe_i64 s[14:15], s[18:19], 0x200000
	s_branch .LBB35_148
.LBB35_155:
	s_cmpk_lt_i32 s48, 0x12e
	s_cbranch_scc1 .LBB35_164
; %bb.156:
	s_mov_b64 s[8:9], 0x12d
	s_mov_b32 s11, 0
	v_mov_b32_e32 v0, 0
	s_mov_b64 s[12:13], s[36:37]
	s_branch .LBB35_158
.LBB35_157:                             ;   in Loop: Header=BB35_158 Depth=1
	s_lshl_b64 s[14:15], s[14:15], 2
	s_add_u32 s14, s36, s14
	s_addc_u32 s15, s37, s15
	s_add_u32 s8, s8, 1
	s_addc_u32 s9, s9, 0
	;; [unrolled: 2-line block ×3, first 2 shown]
	s_cmp_lg_u32 s8, s48
	global_store_dword v0, v1, s[14:15]
	s_cbranch_scc0 .LBB35_164
.LBB35_158:                             ; =>This Loop Header: Depth=1
                                        ;     Child Loop BB35_160 Depth 2
	s_mov_b32 s10, s8
	s_lshl_b64 s[14:15], s[10:11], 2
	s_add_u32 s14, s36, s14
	s_addc_u32 s15, s37, s15
	global_load_dword v1, v0, s[14:15]
	s_mov_b64 s[16:17], s[12:13]
	s_mov_b64 s[14:15], s[8:9]
	s_branch .LBB35_160
.LBB35_159:                             ;   in Loop: Header=BB35_160 Depth=2
	s_add_u32 s18, s14, 0xfffffed3
	s_addc_u32 s19, s15, -1
	global_store_dword v0, v2, s[16:17] offset:1204
	s_add_u32 s16, s16, 0xfffffb4c
	s_addc_u32 s17, s17, -1
	s_cmpk_lt_i32 s14, 0x25a
	s_mov_b64 s[20:21], 0
	s_cselect_b64 s[22:23], -1, 0
	s_mov_b64 s[14:15], s[18:19]
	s_andn2_b64 vcc, exec, s[22:23]
	s_cbranch_vccz .LBB35_162
.LBB35_160:                             ;   Parent Loop BB35_158 Depth=1
                                        ; =>  This Inner Loop Header: Depth=2
	global_load_dword v2, v0, s[16:17]
	s_mov_b64 s[20:21], -1
	s_waitcnt vmcnt(0)
	v_cmp_nlt_f32_e32 vcc, v2, v1
	s_cbranch_vccz .LBB35_159
; %bb.161:                              ;   in Loop: Header=BB35_158 Depth=1
                                        ; implicit-def: $sgpr16_sgpr17
                                        ; implicit-def: $sgpr18_sgpr19
.LBB35_162:                             ;   in Loop: Header=BB35_158 Depth=1
	s_andn2_b64 vcc, exec, s[20:21]
	s_cbranch_vccz .LBB35_157
; %bb.163:                              ;   in Loop: Header=BB35_158 Depth=1
	s_bfe_i64 s[14:15], s[18:19], 0x200000
	s_branch .LBB35_157
.LBB35_164:
	s_cmpk_lt_i32 s48, 0x85
	s_cbranch_scc1 .LBB35_173
; %bb.165:
	s_mov_b64 s[8:9], 0x84
	s_mov_b32 s11, 0
	v_mov_b32_e32 v0, 0
	s_mov_b64 s[12:13], s[36:37]
	s_branch .LBB35_167
.LBB35_166:                             ;   in Loop: Header=BB35_167 Depth=1
	s_lshl_b64 s[14:15], s[14:15], 2
	s_add_u32 s14, s36, s14
	s_addc_u32 s15, s37, s15
	s_add_u32 s8, s8, 1
	s_addc_u32 s9, s9, 0
	;; [unrolled: 2-line block ×3, first 2 shown]
	s_cmp_lg_u32 s8, s48
	global_store_dword v0, v1, s[14:15]
	s_cbranch_scc0 .LBB35_173
.LBB35_167:                             ; =>This Loop Header: Depth=1
                                        ;     Child Loop BB35_169 Depth 2
	s_mov_b32 s10, s8
	s_lshl_b64 s[14:15], s[10:11], 2
	s_add_u32 s14, s36, s14
	s_addc_u32 s15, s37, s15
	global_load_dword v1, v0, s[14:15]
	s_mov_b64 s[16:17], s[12:13]
	s_mov_b64 s[14:15], s[8:9]
	s_branch .LBB35_169
.LBB35_168:                             ;   in Loop: Header=BB35_169 Depth=2
	s_add_u32 s18, s14, 0xffffff7c
	s_addc_u32 s19, s15, -1
	global_store_dword v0, v2, s[16:17] offset:528
	s_add_u32 s16, s16, 0xfffffdf0
	s_addc_u32 s17, s17, -1
	s_cmpk_lt_i32 s14, 0x108
	s_mov_b64 s[20:21], 0
	s_cselect_b64 s[22:23], -1, 0
	s_mov_b64 s[14:15], s[18:19]
	s_andn2_b64 vcc, exec, s[22:23]
	s_cbranch_vccz .LBB35_171
.LBB35_169:                             ;   Parent Loop BB35_167 Depth=1
                                        ; =>  This Inner Loop Header: Depth=2
	global_load_dword v2, v0, s[16:17]
	s_mov_b64 s[20:21], -1
	s_waitcnt vmcnt(0)
	v_cmp_nlt_f32_e32 vcc, v2, v1
	s_cbranch_vccz .LBB35_168
; %bb.170:                              ;   in Loop: Header=BB35_167 Depth=1
                                        ; implicit-def: $sgpr16_sgpr17
                                        ; implicit-def: $sgpr18_sgpr19
.LBB35_171:                             ;   in Loop: Header=BB35_167 Depth=1
	s_andn2_b64 vcc, exec, s[20:21]
	s_cbranch_vccz .LBB35_166
; %bb.172:                              ;   in Loop: Header=BB35_167 Depth=1
	s_bfe_i64 s[14:15], s[18:19], 0x200000
	s_branch .LBB35_166
.LBB35_173:
	s_cmp_lt_i32 s48, 58
	s_cbranch_scc1 .LBB35_182
; %bb.174:
	s_mov_b64 s[8:9], 57
	s_mov_b32 s11, 0
	v_mov_b32_e32 v0, 0
	s_mov_b64 s[12:13], s[36:37]
	s_branch .LBB35_176
.LBB35_175:                             ;   in Loop: Header=BB35_176 Depth=1
	s_lshl_b64 s[14:15], s[14:15], 2
	s_add_u32 s14, s36, s14
	s_addc_u32 s15, s37, s15
	s_add_u32 s8, s8, 1
	s_addc_u32 s9, s9, 0
	;; [unrolled: 2-line block ×3, first 2 shown]
	s_cmp_lg_u32 s8, s48
	global_store_dword v0, v1, s[14:15]
	s_cbranch_scc0 .LBB35_182
.LBB35_176:                             ; =>This Loop Header: Depth=1
                                        ;     Child Loop BB35_178 Depth 2
	s_mov_b32 s10, s8
	s_lshl_b64 s[14:15], s[10:11], 2
	s_add_u32 s14, s36, s14
	s_addc_u32 s15, s37, s15
	global_load_dword v1, v0, s[14:15]
	s_mov_b64 s[16:17], s[12:13]
	s_mov_b64 s[14:15], s[8:9]
	s_branch .LBB35_178
.LBB35_177:                             ;   in Loop: Header=BB35_178 Depth=2
	s_add_u32 s18, s14, 0xffffffc7
	s_addc_u32 s19, s15, -1
	global_store_dword v0, v2, s[16:17] offset:228
	s_add_u32 s16, s16, 0xffffff1c
	s_addc_u32 s17, s17, -1
	s_cmpk_lt_i32 s14, 0x72
	s_mov_b64 s[20:21], 0
	s_cselect_b64 s[22:23], -1, 0
	s_mov_b64 s[14:15], s[18:19]
	s_andn2_b64 vcc, exec, s[22:23]
	s_cbranch_vccz .LBB35_180
.LBB35_178:                             ;   Parent Loop BB35_176 Depth=1
                                        ; =>  This Inner Loop Header: Depth=2
	global_load_dword v2, v0, s[16:17]
	s_mov_b64 s[20:21], -1
	s_waitcnt vmcnt(0)
	v_cmp_nlt_f32_e32 vcc, v2, v1
	s_cbranch_vccz .LBB35_177
; %bb.179:                              ;   in Loop: Header=BB35_176 Depth=1
                                        ; implicit-def: $sgpr16_sgpr17
                                        ; implicit-def: $sgpr18_sgpr19
.LBB35_180:                             ;   in Loop: Header=BB35_176 Depth=1
	s_andn2_b64 vcc, exec, s[20:21]
	s_cbranch_vccz .LBB35_175
; %bb.181:                              ;   in Loop: Header=BB35_176 Depth=1
	s_bfe_i64 s[14:15], s[18:19], 0x200000
	s_branch .LBB35_175
.LBB35_182:
	s_cmp_lt_i32 s48, 24
	s_cbranch_scc1 .LBB35_191
; %bb.183:
	s_mov_b64 s[8:9], 23
	s_mov_b32 s11, 0
	v_mov_b32_e32 v0, 0
	s_mov_b64 s[12:13], s[36:37]
	s_branch .LBB35_185
.LBB35_184:                             ;   in Loop: Header=BB35_185 Depth=1
	s_lshl_b64 s[14:15], s[14:15], 2
	s_add_u32 s14, s36, s14
	s_addc_u32 s15, s37, s15
	s_add_u32 s8, s8, 1
	s_addc_u32 s9, s9, 0
	;; [unrolled: 2-line block ×3, first 2 shown]
	s_cmp_lg_u32 s8, s48
	global_store_dword v0, v1, s[14:15]
	s_cbranch_scc0 .LBB35_191
.LBB35_185:                             ; =>This Loop Header: Depth=1
                                        ;     Child Loop BB35_187 Depth 2
	s_mov_b32 s10, s8
	s_lshl_b64 s[14:15], s[10:11], 2
	s_add_u32 s14, s36, s14
	s_addc_u32 s15, s37, s15
	global_load_dword v1, v0, s[14:15]
	s_mov_b64 s[16:17], s[12:13]
	s_mov_b64 s[14:15], s[8:9]
	s_branch .LBB35_187
.LBB35_186:                             ;   in Loop: Header=BB35_187 Depth=2
	s_add_u32 s18, s14, 0xffffffe9
	s_addc_u32 s19, s15, -1
	global_store_dword v0, v2, s[16:17] offset:92
	s_add_u32 s16, s16, 0xffffffa4
	s_addc_u32 s17, s17, -1
	s_cmp_lt_i32 s14, 46
	s_mov_b64 s[20:21], 0
	s_cselect_b64 s[22:23], -1, 0
	s_mov_b64 s[14:15], s[18:19]
	s_andn2_b64 vcc, exec, s[22:23]
	s_cbranch_vccz .LBB35_189
.LBB35_187:                             ;   Parent Loop BB35_185 Depth=1
                                        ; =>  This Inner Loop Header: Depth=2
	global_load_dword v2, v0, s[16:17]
	s_mov_b64 s[20:21], -1
	s_waitcnt vmcnt(0)
	v_cmp_nlt_f32_e32 vcc, v2, v1
	s_cbranch_vccz .LBB35_186
; %bb.188:                              ;   in Loop: Header=BB35_185 Depth=1
                                        ; implicit-def: $sgpr16_sgpr17
                                        ; implicit-def: $sgpr18_sgpr19
.LBB35_189:                             ;   in Loop: Header=BB35_185 Depth=1
	s_andn2_b64 vcc, exec, s[20:21]
	s_cbranch_vccz .LBB35_184
; %bb.190:                              ;   in Loop: Header=BB35_185 Depth=1
	s_bfe_i64 s[14:15], s[18:19], 0x200000
	s_branch .LBB35_184
.LBB35_191:
	s_cmp_lt_i32 s48, 11
	s_cbranch_scc1 .LBB35_200
; %bb.192:
	s_mov_b64 s[8:9], 10
	s_mov_b32 s11, 0
	v_mov_b32_e32 v0, 0
	s_mov_b64 s[12:13], s[36:37]
	s_branch .LBB35_194
.LBB35_193:                             ;   in Loop: Header=BB35_194 Depth=1
	s_lshl_b64 s[14:15], s[14:15], 2
	s_add_u32 s14, s36, s14
	s_addc_u32 s15, s37, s15
	s_add_u32 s8, s8, 1
	s_addc_u32 s9, s9, 0
	;; [unrolled: 2-line block ×3, first 2 shown]
	s_cmp_lg_u32 s8, s48
	global_store_dword v0, v1, s[14:15]
	s_cbranch_scc0 .LBB35_200
.LBB35_194:                             ; =>This Loop Header: Depth=1
                                        ;     Child Loop BB35_196 Depth 2
	s_mov_b32 s10, s8
	s_lshl_b64 s[14:15], s[10:11], 2
	s_add_u32 s14, s36, s14
	s_addc_u32 s15, s37, s15
	global_load_dword v1, v0, s[14:15]
	s_mov_b64 s[16:17], s[12:13]
	s_mov_b64 s[14:15], s[8:9]
	s_branch .LBB35_196
.LBB35_195:                             ;   in Loop: Header=BB35_196 Depth=2
	s_add_u32 s18, s14, -10
	s_addc_u32 s19, s15, -1
	global_store_dword v0, v2, s[16:17] offset:40
	s_add_u32 s16, s16, 0xffffffd8
	s_addc_u32 s17, s17, -1
	s_cmp_lt_i32 s14, 20
	s_mov_b64 s[20:21], 0
	s_cselect_b64 s[22:23], -1, 0
	s_mov_b64 s[14:15], s[18:19]
	s_andn2_b64 vcc, exec, s[22:23]
	s_cbranch_vccz .LBB35_198
.LBB35_196:                             ;   Parent Loop BB35_194 Depth=1
                                        ; =>  This Inner Loop Header: Depth=2
	global_load_dword v2, v0, s[16:17]
	s_mov_b64 s[20:21], -1
	s_waitcnt vmcnt(0)
	v_cmp_nlt_f32_e32 vcc, v2, v1
	s_cbranch_vccz .LBB35_195
; %bb.197:                              ;   in Loop: Header=BB35_194 Depth=1
                                        ; implicit-def: $sgpr16_sgpr17
                                        ; implicit-def: $sgpr18_sgpr19
.LBB35_198:                             ;   in Loop: Header=BB35_194 Depth=1
	s_andn2_b64 vcc, exec, s[20:21]
	s_cbranch_vccz .LBB35_193
; %bb.199:                              ;   in Loop: Header=BB35_194 Depth=1
	s_bfe_i64 s[14:15], s[18:19], 0x200000
	s_branch .LBB35_193
.LBB35_200:
	s_cmp_lt_i32 s48, 5
	s_cbranch_scc1 .LBB35_209
; %bb.201:
	s_add_u32 s8, s54, s52
	s_addc_u32 s9, s55, s53
	s_add_u32 s8, s8, 16
	s_addc_u32 s9, s9, 0
	s_mov_b64 s[10:11], 4
	s_mov_b32 s13, 0
	v_mov_b32_e32 v0, 0
	s_branch .LBB35_203
.LBB35_202:                             ;   in Loop: Header=BB35_203 Depth=1
	s_lshl_b64 s[14:15], s[14:15], 2
	s_add_u32 s14, s36, s14
	s_addc_u32 s15, s37, s15
	s_add_u32 s10, s10, 1
	s_addc_u32 s11, s11, 0
	;; [unrolled: 2-line block ×3, first 2 shown]
	s_cmp_lg_u32 s10, s48
	global_store_dword v0, v1, s[14:15]
	s_cbranch_scc0 .LBB35_209
.LBB35_203:                             ; =>This Loop Header: Depth=1
                                        ;     Child Loop BB35_205 Depth 2
	s_mov_b32 s12, s10
	s_lshl_b64 s[14:15], s[12:13], 2
	s_add_u32 s14, s36, s14
	s_addc_u32 s15, s37, s15
	global_load_dword v1, v0, s[14:15]
	s_mov_b64 s[16:17], s[8:9]
	s_mov_b64 s[14:15], s[10:11]
	s_branch .LBB35_205
.LBB35_204:                             ;   in Loop: Header=BB35_205 Depth=2
	s_add_u32 s20, s14, -4
	s_addc_u32 s21, s15, -1
	s_cmp_lt_i32 s14, 8
	global_store_dword v0, v2, s[16:17]
	s_mov_b64 s[18:19], 0
	s_cselect_b64 s[24:25], -1, 0
	s_mov_b64 s[14:15], s[20:21]
	s_mov_b64 s[16:17], s[22:23]
	s_andn2_b64 vcc, exec, s[24:25]
	s_cbranch_vccz .LBB35_207
.LBB35_205:                             ;   Parent Loop BB35_203 Depth=1
                                        ; =>  This Inner Loop Header: Depth=2
	global_load_dword v2, v0, s[16:17] offset:-16
	s_add_u32 s22, s16, -16
	s_addc_u32 s23, s17, -1
	s_mov_b64 s[18:19], -1
	s_waitcnt vmcnt(0)
	v_cmp_nlt_f32_e32 vcc, v2, v1
	s_cbranch_vccz .LBB35_204
; %bb.206:                              ;   in Loop: Header=BB35_203 Depth=1
                                        ; implicit-def: $sgpr16_sgpr17
                                        ; implicit-def: $sgpr20_sgpr21
.LBB35_207:                             ;   in Loop: Header=BB35_203 Depth=1
	s_andn2_b64 vcc, exec, s[18:19]
	s_cbranch_vccz .LBB35_202
; %bb.208:                              ;   in Loop: Header=BB35_203 Depth=1
	s_bfe_i64 s[14:15], s[20:21], 0x200000
	s_branch .LBB35_202
.LBB35_209:
	s_cmp_lt_i32 s48, 2
	s_cbranch_scc1 .LBB35_216
; %bb.210:
	s_add_u32 s8, s54, s52
	s_addc_u32 s9, s55, s53
	s_add_u32 s8, s8, 4
	s_addc_u32 s9, s9, 0
	s_mov_b64 s[10:11], 1
	s_mov_b32 s13, 0
	v_mov_b32_e32 v0, 0
	s_branch .LBB35_212
.LBB35_211:                             ;   in Loop: Header=BB35_212 Depth=1
	s_lshl_b64 s[14:15], s[18:19], 2
	s_add_u32 s14, s36, s14
	s_addc_u32 s15, s37, s15
	s_add_u32 s10, s10, 1
	s_addc_u32 s11, s11, 0
	;; [unrolled: 2-line block ×3, first 2 shown]
	s_cmp_eq_u32 s10, s48
	global_store_dword v0, v1, s[14:15]
	s_cbranch_scc1 .LBB35_216
.LBB35_212:                             ; =>This Loop Header: Depth=1
                                        ;     Child Loop BB35_214 Depth 2
	s_mov_b32 s12, s10
	s_lshl_b64 s[14:15], s[12:13], 2
	s_add_u32 s14, s36, s14
	s_addc_u32 s15, s37, s15
	global_load_dword v1, v0, s[14:15]
	s_mov_b64 s[16:17], s[8:9]
	s_mov_b64 s[14:15], s[10:11]
	s_branch .LBB35_214
.LBB35_213:                             ;   in Loop: Header=BB35_214 Depth=2
	global_store_dword v0, v2, s[16:17]
	s_add_u32 s16, s14, -1
	s_addc_u32 s17, s15, -1
	s_cmp_lt_i32 s14, 2
	s_mov_b64 s[18:19], 0
	s_cselect_b64 s[20:21], -1, 0
	s_mov_b64 s[14:15], s[16:17]
	s_mov_b64 s[16:17], s[22:23]
	s_andn2_b64 vcc, exec, s[20:21]
	s_cbranch_vccz .LBB35_211
.LBB35_214:                             ;   Parent Loop BB35_212 Depth=1
                                        ; =>  This Inner Loop Header: Depth=2
	global_load_dword v2, v0, s[16:17] offset:-4
	s_add_u32 s22, s16, -4
	s_addc_u32 s23, s17, -1
	s_mov_b64 s[20:21], -1
	s_waitcnt vmcnt(0)
	v_cmp_nlt_f32_e32 vcc, v2, v1
	s_cbranch_vccz .LBB35_213
; %bb.215:                              ;   in Loop: Header=BB35_214 Depth=2
                                        ; implicit-def: $sgpr16_sgpr17
	s_mov_b64 s[18:19], s[14:15]
	s_andn2_b64 vcc, exec, s[20:21]
	s_cbranch_vccnz .LBB35_214
	s_branch .LBB35_211
.LBB35_216:
	s_or_b64 exec, exec, s[6:7]
	s_cmp_lt_i32 s48, 2
	s_cselect_b64 s[10:11], -1, 0
	s_mov_b64 s[58:59], 0
	s_and_b64 vcc, exec, s[10:11]
	s_barrier
	s_cbranch_vccnz .LBB35_224
; %bb.217:
	s_add_i32 s20, s48, -1
	v_cmp_gt_u32_e32 vcc, s20, v41
	s_mov_b64 s[10:11], -1
	s_mov_b64 s[6:7], 0
	s_and_saveexec_b64 s[8:9], vcc
	s_cbranch_execz .LBB35_226
; %bb.218:
	s_add_u32 s21, s36, 4
	s_addc_u32 s22, s37, 0
	s_mov_b64 s[10:11], 0
	v_mov_b32_e32 v1, 0
	v_mov_b32_e32 v2, s37
	;; [unrolled: 1-line block ×3, first 2 shown]
                                        ; implicit-def: $sgpr12_sgpr13
	s_branch .LBB35_220
.LBB35_219:                             ;   in Loop: Header=BB35_220 Depth=1
	s_or_b64 exec, exec, s[18:19]
	s_xor_b64 s[14:15], s[14:15], -1
	s_and_b64 s[6:7], exec, s[6:7]
	s_or_b64 s[10:11], s[6:7], s[10:11]
	s_andn2_b64 s[6:7], s[12:13], exec
	s_and_b64 s[12:13], s[14:15], exec
	s_or_b64 s[12:13], s[6:7], s[12:13]
	s_andn2_b64 exec, exec, s[10:11]
	s_cbranch_execz .LBB35_225
.LBB35_220:                             ; =>This Inner Loop Header: Depth=1
	v_lshlrev_b64 v[4:5], 2, v[0:1]
	v_add_co_u32_e32 v4, vcc, s36, v4
	v_addc_co_u32_e32 v5, vcc, v2, v5, vcc
	global_load_dword v3, v[4:5], off
                                        ; implicit-def: $sgpr14_sgpr15
	s_waitcnt vmcnt(0)
	v_cmp_u_f32_e64 s[16:17], v3, v3
	v_cmp_o_f32_e32 vcc, v3, v3
	s_and_saveexec_b64 s[18:19], vcc
	s_cbranch_execz .LBB35_222
; %bb.221:                              ;   in Loop: Header=BB35_220 Depth=1
	v_ashrrev_i32_e32 v5, 31, v0
	v_mov_b32_e32 v4, v0
	v_lshlrev_b64 v[4:5], 2, v[4:5]
	v_mov_b32_e32 v6, s22
	v_add_co_u32_e32 v4, vcc, s21, v4
	v_addc_co_u32_e32 v5, vcc, v6, v5, vcc
	global_load_dword v4, v[4:5], off
	s_andn2_b64 s[16:17], s[16:17], exec
	s_mov_b64 s[14:15], -1
	s_waitcnt vmcnt(0)
	v_cmp_u_f32_e32 vcc, v4, v4
	v_cmp_ge_f32_e64 s[6:7], v3, v4
	s_or_b64 s[6:7], vcc, s[6:7]
	s_and_b64 s[6:7], s[6:7], exec
	s_or_b64 s[16:17], s[16:17], s[6:7]
.LBB35_222:                             ;   in Loop: Header=BB35_220 Depth=1
	s_or_b64 exec, exec, s[18:19]
	s_mov_b64 s[6:7], -1
	s_and_saveexec_b64 s[18:19], s[16:17]
	s_cbranch_execz .LBB35_219
; %bb.223:                              ;   in Loop: Header=BB35_220 Depth=1
	v_add_u32_e32 v0, s60, v0
	v_cmp_le_u32_e32 vcc, s20, v0
	s_andn2_b64 s[14:15], s[14:15], exec
	s_orn2_b64 s[6:7], vcc, exec
	s_branch .LBB35_219
.LBB35_224:
	s_mov_b64 s[6:7], 0
	s_branch .LBB35_227
.LBB35_225:
	s_or_b64 exec, exec, s[10:11]
	s_mov_b64 s[6:7], exec
	s_orn2_b64 s[10:11], s[12:13], exec
.LBB35_226:
	s_or_b64 exec, exec, s[8:9]
.LBB35_227:
	s_and_saveexec_b64 s[8:9], s[10:11]
	s_cbranch_execz .LBB35_229
; %bb.228:
	s_mov_b64 s[58:59], exec
	s_barrier
	s_andn2_b64 s[6:7], s[6:7], exec
.LBB35_229:
	s_or_b64 exec, exec, s[8:9]
	s_and_saveexec_b64 s[40:41], s[6:7]
	s_cbranch_execz .LBB35_231
; %bb.230:
	s_add_u32 s8, s4, 0x90
	s_addc_u32 s9, s5, 0
	s_getpc_b64 s[4:5]
	s_add_u32 s4, s4, __PRETTY_FUNCTION__._ZN9rocsolver6v33100L21shell_sort_descendingIfiEEvT0_PT_PS2_@rel32@lo+4
	s_addc_u32 s5, s5, __PRETTY_FUNCTION__._ZN9rocsolver6v33100L21shell_sort_descendingIfiEEvT0_PT_PS2_@rel32@hi+12
	v_mov_b32_e32 v0, s4
	v_mov_b32_e32 v1, s5
	s_getpc_b64 s[6:7]
	s_add_u32 s6, s6, __assert_fail@rel32@lo+4
	s_addc_u32 s7, s7, __assert_fail@rel32@hi+12
	s_swappc_b64 s[30:31], s[6:7]
	s_or_b64 s[62:63], s[62:63], exec
.LBB35_231:
	s_or_b64 exec, exec, s[40:41]
.LBB35_232:
	s_and_saveexec_b64 s[4:5], s[62:63]
; %bb.233:
	; divergent unreachable
; %bb.234:
	s_or_b64 exec, exec, s[4:5]
	s_and_saveexec_b64 s[4:5], s[58:59]
	s_cbranch_execz .LBB35_236
; %bb.235:
	s_barrier
.LBB35_236:
	s_or_b64 exec, exec, s[4:5]
	s_cbranch_execnz .LBB35_260
.LBB35_237:
	s_cmp_lt_i32 s48, 2
	s_cbranch_scc1 .LBB35_260
; %bb.238:
	s_cmp_lg_u32 s49, 0
	s_cselect_b64 s[12:13], -1, 0
	s_cmp_lg_u32 s50, 0
	s_cselect_b64 s[14:15], -1, 0
	s_cmp_lg_u32 s51, 0
	s_cselect_b64 s[16:17], -1, 0
	s_add_i32 s33, s48, -2
	s_add_u32 s18, s54, s52
	v_cndmask_b32_e64 v3, 0, 1, s[12:13]
	s_addc_u32 s21, s55, s53
	v_cmp_ne_u32_e64 s[12:13], 1, v3
	v_cndmask_b32_e64 v3, 0, 1, s[14:15]
	s_add_u32 s20, s18, 4
	v_cmp_ne_u32_e64 s[14:15], 1, v3
	v_cndmask_b32_e64 v3, 0, 1, s[16:17]
	s_mov_b32 s19, 0
	v_cmp_eq_u32_e64 s[4:5], 0, v41
	v_cmp_gt_i32_e64 s[6:7], s49, v41
	v_cmp_gt_i32_e64 s[8:9], s50, v41
	;; [unrolled: 1-line block ×3, first 2 shown]
	s_addc_u32 s21, s21, 0
	v_mul_lo_u32 v0, s47, v41
	s_mul_i32 s40, s47, s42
	v_mul_lo_u32 v1, s61, v41
	s_mul_i32 s41, s61, s42
	v_mov_b32_e32 v2, 0
	v_cmp_ne_u32_e64 s[16:17], 1, v3
	s_mov_b32 s47, 0
	s_mov_b32 s52, 0
	s_branch .LBB35_241
.LBB35_239:                             ;   in Loop: Header=BB35_241 Depth=1
	s_or_b64 exec, exec, s[24:25]
	s_waitcnt lgkmcnt(0)
	s_barrier
.LBB35_240:                             ;   in Loop: Header=BB35_241 Depth=1
	s_add_u32 s20, s20, 4
	s_addc_u32 s21, s21, 0
	s_add_i32 s47, s47, s43
	s_cmp_eq_u32 s18, s33
	s_cbranch_scc1 .LBB35_260
.LBB35_241:                             ; =>This Loop Header: Depth=1
                                        ;     Child Loop BB35_242 Depth 2
                                        ;     Child Loop BB35_249 Depth 2
	;; [unrolled: 1-line block ×4, first 2 shown]
	s_mov_b32 s18, s52
	s_lshl_b64 s[22:23], s[18:19], 2
	s_add_u32 s24, s36, s22
	s_addc_u32 s25, s37, s23
	global_load_dword v3, v2, s[24:25]
	s_add_i32 s52, s52, 1
	s_mov_b64 s[30:31], s[20:21]
	s_mov_b32 s23, s52
	s_mov_b32 s22, s18
.LBB35_242:                             ;   Parent Loop BB35_241 Depth=1
                                        ; =>  This Inner Loop Header: Depth=2
	global_load_dword v4, v2, s[30:31]
	s_waitcnt vmcnt(0)
	v_cmp_gt_f32_e32 vcc, v4, v3
	s_and_b64 s[54:55], vcc, exec
	s_cselect_b32 s22, s23, s22
	s_add_i32 s23, s23, 1
	s_add_u32 s30, s30, 4
	s_addc_u32 s31, s31, 0
	v_cndmask_b32_e32 v3, v3, v4, vcc
	s_cmp_lt_i32 s23, s48
	s_cbranch_scc1 .LBB35_242
; %bb.243:                              ;   in Loop: Header=BB35_241 Depth=1
	s_cmp_eq_u32 s22, s18
	s_barrier
	s_cbranch_scc1 .LBB35_240
; %bb.244:                              ;   in Loop: Header=BB35_241 Depth=1
	s_and_saveexec_b64 s[30:31], s[4:5]
	s_cbranch_execz .LBB35_246
; %bb.245:                              ;   in Loop: Header=BB35_241 Depth=1
	global_load_dword v4, v2, s[24:25]
	s_ashr_i32 s23, s22, 31
	s_lshl_b64 s[54:55], s[22:23], 2
	s_add_u32 s54, s36, s54
	s_addc_u32 s55, s37, s55
	s_waitcnt vmcnt(0)
	global_store_dword v2, v4, s[54:55]
	global_store_dword v2, v3, s[24:25]
.LBB35_246:                             ;   in Loop: Header=BB35_241 Depth=1
	s_or_b64 exec, exec, s[30:31]
	s_and_b64 vcc, exec, s[12:13]
	s_cbranch_vccnz .LBB35_251
; %bb.247:                              ;   in Loop: Header=BB35_241 Depth=1
	s_and_saveexec_b64 s[24:25], s[6:7]
	s_cbranch_execz .LBB35_250
; %bb.248:                              ;   in Loop: Header=BB35_241 Depth=1
	s_mov_b64 s[30:31], 0
	v_mov_b32_e32 v3, v0
	v_mov_b32_e32 v4, v41
.LBB35_249:                             ;   Parent Loop BB35_241 Depth=1
                                        ; =>  This Inner Loop Header: Depth=2
	v_add_u32_e32 v6, s22, v3
	v_ashrrev_i32_e32 v7, 31, v6
	v_add_u32_e32 v8, s18, v3
	v_lshlrev_b64 v[6:7], 3, v[6:7]
	v_mov_b32_e32 v5, s35
	v_ashrrev_i32_e32 v9, 31, v8
	v_add_co_u32_e32 v6, vcc, s34, v6
	v_lshlrev_b64 v[8:9], 3, v[8:9]
	v_addc_co_u32_e32 v7, vcc, v5, v7, vcc
	v_add_co_u32_e32 v8, vcc, s34, v8
	v_addc_co_u32_e32 v9, vcc, v5, v9, vcc
	flat_load_dwordx2 v[10:11], v[8:9]
	flat_load_dwordx2 v[12:13], v[6:7]
	v_add_u32_e32 v4, s42, v4
	v_cmp_le_i32_e32 vcc, s49, v4
	v_add_u32_e32 v3, s40, v3
	s_or_b64 s[30:31], vcc, s[30:31]
	s_waitcnt vmcnt(0) lgkmcnt(0)
	flat_store_dwordx2 v[6:7], v[10:11]
	flat_store_dwordx2 v[8:9], v[12:13]
	s_andn2_b64 exec, exec, s[30:31]
	s_cbranch_execnz .LBB35_249
.LBB35_250:                             ;   in Loop: Header=BB35_241 Depth=1
	s_or_b64 exec, exec, s[24:25]
	s_waitcnt lgkmcnt(0)
	s_barrier
.LBB35_251:                             ;   in Loop: Header=BB35_241 Depth=1
	s_and_b64 vcc, exec, s[14:15]
	s_cbranch_vccnz .LBB35_256
; %bb.252:                              ;   in Loop: Header=BB35_241 Depth=1
	s_and_saveexec_b64 s[24:25], s[8:9]
	s_cbranch_execz .LBB35_255
; %bb.253:                              ;   in Loop: Header=BB35_241 Depth=1
	s_mul_i32 s23, s22, s43
	s_mov_b64 s[30:31], 0
	v_mov_b32_e32 v3, v41
.LBB35_254:                             ;   Parent Loop BB35_241 Depth=1
                                        ; =>  This Inner Loop Header: Depth=2
	v_add_u32_e32 v4, s23, v3
	v_ashrrev_i32_e32 v5, 31, v4
	v_add_u32_e32 v6, s47, v3
	v_lshlrev_b64 v[4:5], 3, v[4:5]
	v_mov_b32_e32 v8, s29
	v_ashrrev_i32_e32 v7, 31, v6
	v_add_co_u32_e32 v4, vcc, s28, v4
	v_lshlrev_b64 v[6:7], 3, v[6:7]
	v_addc_co_u32_e32 v5, vcc, v8, v5, vcc
	v_add_co_u32_e32 v6, vcc, s28, v6
	v_addc_co_u32_e32 v7, vcc, v8, v7, vcc
	flat_load_dwordx2 v[8:9], v[6:7]
	flat_load_dwordx2 v[10:11], v[4:5]
	v_add_u32_e32 v3, s42, v3
	v_cmp_le_i32_e32 vcc, s50, v3
	s_or_b64 s[30:31], vcc, s[30:31]
	s_waitcnt vmcnt(0) lgkmcnt(0)
	flat_store_dwordx2 v[4:5], v[8:9]
	flat_store_dwordx2 v[6:7], v[10:11]
	s_andn2_b64 exec, exec, s[30:31]
	s_cbranch_execnz .LBB35_254
.LBB35_255:                             ;   in Loop: Header=BB35_241 Depth=1
	s_or_b64 exec, exec, s[24:25]
	s_waitcnt lgkmcnt(0)
	s_barrier
.LBB35_256:                             ;   in Loop: Header=BB35_241 Depth=1
	s_and_b64 vcc, exec, s[16:17]
	s_cbranch_vccnz .LBB35_240
; %bb.257:                              ;   in Loop: Header=BB35_241 Depth=1
	s_and_saveexec_b64 s[24:25], s[10:11]
	s_cbranch_execz .LBB35_239
; %bb.258:                              ;   in Loop: Header=BB35_241 Depth=1
	s_mov_b64 s[30:31], 0
	v_mov_b32_e32 v3, v1
	v_mov_b32_e32 v4, v41
.LBB35_259:                             ;   Parent Loop BB35_241 Depth=1
                                        ; =>  This Inner Loop Header: Depth=2
	v_add_u32_e32 v6, s22, v3
	v_ashrrev_i32_e32 v7, 31, v6
	v_add_u32_e32 v8, s18, v3
	v_lshlrev_b64 v[6:7], 3, v[6:7]
	v_mov_b32_e32 v5, s45
	v_ashrrev_i32_e32 v9, 31, v8
	v_add_co_u32_e32 v6, vcc, s44, v6
	v_lshlrev_b64 v[8:9], 3, v[8:9]
	v_addc_co_u32_e32 v7, vcc, v5, v7, vcc
	v_add_co_u32_e32 v8, vcc, s44, v8
	v_addc_co_u32_e32 v9, vcc, v5, v9, vcc
	flat_load_dwordx2 v[10:11], v[8:9]
	flat_load_dwordx2 v[12:13], v[6:7]
	v_add_u32_e32 v4, s42, v4
	v_cmp_le_i32_e32 vcc, s51, v4
	v_add_u32_e32 v3, s41, v3
	s_or_b64 s[30:31], vcc, s[30:31]
	s_waitcnt vmcnt(0) lgkmcnt(0)
	flat_store_dwordx2 v[6:7], v[10:11]
	flat_store_dwordx2 v[8:9], v[12:13]
	s_andn2_b64 exec, exec, s[30:31]
	s_cbranch_execnz .LBB35_259
	s_branch .LBB35_239
.LBB35_260:
	s_mov_b64 s[6:7], 0
.LBB35_261:
	s_andn2_b64 vcc, exec, s[6:7]
	s_cbranch_vccnz .LBB35_264
; %bb.262:
	v_cmp_eq_u32_e32 vcc, 0, v41
	s_and_saveexec_b64 s[4:5], vcc
	s_cbranch_execz .LBB35_264
; %bb.263:
	s_add_u32 s4, s38, s26
	s_addc_u32 s5, s39, s27
	v_mov_b32_e32 v0, 0
	v_mov_b32_e32 v1, s46
	global_store_dword v0, v1, s[4:5]
.LBB35_264:
	s_endpgm
	.section	.rodata,"a",@progbits
	.p2align	6, 0x0
	.amdhsa_kernel _ZN9rocsolver6v33100L14bdsqr_finalizeI19rocblas_complex_numIfEfPS3_S4_S4_EEviiiiPT0_lS6_lT1_iilT2_iilT3_iilPiSA_SA_
		.amdhsa_group_segment_fixed_size 0
		.amdhsa_private_segment_fixed_size 64
		.amdhsa_kernarg_size 400
		.amdhsa_user_sgpr_count 8
		.amdhsa_user_sgpr_private_segment_buffer 1
		.amdhsa_user_sgpr_dispatch_ptr 0
		.amdhsa_user_sgpr_queue_ptr 0
		.amdhsa_user_sgpr_kernarg_segment_ptr 1
		.amdhsa_user_sgpr_dispatch_id 0
		.amdhsa_user_sgpr_flat_scratch_init 1
		.amdhsa_user_sgpr_kernarg_preload_length 0
		.amdhsa_user_sgpr_kernarg_preload_offset 0
		.amdhsa_user_sgpr_private_segment_size 0
		.amdhsa_uses_dynamic_stack 0
		.amdhsa_system_sgpr_private_segment_wavefront_offset 1
		.amdhsa_system_sgpr_workgroup_id_x 1
		.amdhsa_system_sgpr_workgroup_id_y 1
		.amdhsa_system_sgpr_workgroup_id_z 0
		.amdhsa_system_sgpr_workgroup_info 0
		.amdhsa_system_vgpr_workitem_id 2
		.amdhsa_next_free_vgpr 45
		.amdhsa_next_free_sgpr 78
		.amdhsa_accum_offset 48
		.amdhsa_reserve_vcc 1
		.amdhsa_reserve_flat_scratch 1
		.amdhsa_float_round_mode_32 0
		.amdhsa_float_round_mode_16_64 0
		.amdhsa_float_denorm_mode_32 3
		.amdhsa_float_denorm_mode_16_64 3
		.amdhsa_dx10_clamp 1
		.amdhsa_ieee_mode 1
		.amdhsa_fp16_overflow 0
		.amdhsa_tg_split 0
		.amdhsa_exception_fp_ieee_invalid_op 0
		.amdhsa_exception_fp_denorm_src 0
		.amdhsa_exception_fp_ieee_div_zero 0
		.amdhsa_exception_fp_ieee_overflow 0
		.amdhsa_exception_fp_ieee_underflow 0
		.amdhsa_exception_fp_ieee_inexact 0
		.amdhsa_exception_int_div_zero 0
	.end_amdhsa_kernel
	.section	.text._ZN9rocsolver6v33100L14bdsqr_finalizeI19rocblas_complex_numIfEfPS3_S4_S4_EEviiiiPT0_lS6_lT1_iilT2_iilT3_iilPiSA_SA_,"axG",@progbits,_ZN9rocsolver6v33100L14bdsqr_finalizeI19rocblas_complex_numIfEfPS3_S4_S4_EEviiiiPT0_lS6_lT1_iilT2_iilT3_iilPiSA_SA_,comdat
.Lfunc_end35:
	.size	_ZN9rocsolver6v33100L14bdsqr_finalizeI19rocblas_complex_numIfEfPS3_S4_S4_EEviiiiPT0_lS6_lT1_iilT2_iilT3_iilPiSA_SA_, .Lfunc_end35-_ZN9rocsolver6v33100L14bdsqr_finalizeI19rocblas_complex_numIfEfPS3_S4_S4_EEviiiiPT0_lS6_lT1_iilT2_iilT3_iilPiSA_SA_
                                        ; -- End function
	.section	.AMDGPU.csdata,"",@progbits
; Kernel info:
; codeLenInByte = 7716
; NumSgprs: 84
; NumVgprs: 45
; NumAgprs: 0
; TotalNumVgprs: 45
; ScratchSize: 64
; MemoryBound: 0
; FloatMode: 240
; IeeeMode: 1
; LDSByteSize: 0 bytes/workgroup (compile time only)
; SGPRBlocks: 10
; VGPRBlocks: 5
; NumSGPRsForWavesPerEU: 84
; NumVGPRsForWavesPerEU: 45
; AccumOffset: 48
; Occupancy: 8
; WaveLimiterHint : 1
; COMPUTE_PGM_RSRC2:SCRATCH_EN: 1
; COMPUTE_PGM_RSRC2:USER_SGPR: 8
; COMPUTE_PGM_RSRC2:TRAP_HANDLER: 0
; COMPUTE_PGM_RSRC2:TGID_X_EN: 1
; COMPUTE_PGM_RSRC2:TGID_Y_EN: 1
; COMPUTE_PGM_RSRC2:TGID_Z_EN: 0
; COMPUTE_PGM_RSRC2:TIDIG_COMP_CNT: 2
; COMPUTE_PGM_RSRC3_GFX90A:ACCUM_OFFSET: 11
; COMPUTE_PGM_RSRC3_GFX90A:TG_SPLIT: 0
	.section	.text._ZN9rocsolver6v33100L10bdsqr_initI19rocblas_complex_numIdEdEEviPT0_lS5_lPiiS4_S4_S6_S5_lS6_,"axG",@progbits,_ZN9rocsolver6v33100L10bdsqr_initI19rocblas_complex_numIdEdEEviPT0_lS5_lPiiS4_S4_S6_S5_lS6_,comdat
	.globl	_ZN9rocsolver6v33100L10bdsqr_initI19rocblas_complex_numIdEdEEviPT0_lS5_lPiiS4_S4_S6_S5_lS6_ ; -- Begin function _ZN9rocsolver6v33100L10bdsqr_initI19rocblas_complex_numIdEdEEviPT0_lS5_lPiiS4_S4_S6_S5_lS6_
	.p2align	8
	.type	_ZN9rocsolver6v33100L10bdsqr_initI19rocblas_complex_numIdEdEEviPT0_lS5_lPiiS4_S4_S6_S5_lS6_,@function
_ZN9rocsolver6v33100L10bdsqr_initI19rocblas_complex_numIdEdEEviPT0_lS5_lPiiS4_S4_S6_S5_lS6_: ; @_ZN9rocsolver6v33100L10bdsqr_initI19rocblas_complex_numIdEdEEviPT0_lS5_lPiiS4_S4_S6_S5_lS6_
; %bb.0:
	s_load_dword s6, s[4:5], 0x0
	s_load_dwordx8 s[8:15], s[4:5], 0x8
	s_mov_b32 s16, s7
	s_ashr_i32 s17, s7, 31
	s_waitcnt lgkmcnt(0)
	s_ashr_i32 s7, s6, 31
	s_mul_i32 s0, s16, s11
	s_mul_hi_u32 s1, s16, s10
	s_add_i32 s0, s1, s0
	s_mul_i32 s1, s17, s10
	s_add_i32 s1, s0, s1
	s_mul_i32 s0, s16, s10
	s_lshl_b64 s[0:1], s[0:1], 3
	s_add_u32 s18, s8, s0
	s_addc_u32 s19, s9, s1
	s_mul_i32 s0, s16, s15
	s_mul_hi_u32 s1, s16, s14
	s_add_i32 s0, s1, s0
	s_mul_i32 s1, s17, s14
	s_add_i32 s1, s0, s1
	s_mul_i32 s0, s16, s14
	s_lshl_b64 s[0:1], s[0:1], 3
	s_add_u32 s22, s12, s0
	s_addc_u32 s23, s13, s1
	s_lshl_b64 s[0:1], s[6:7], 3
	s_add_u32 s20, s18, s0
	s_addc_u32 s21, s19, s1
	s_add_u32 s0, s20, -8
	s_addc_u32 s1, s21, -1
	s_load_dwordx2 s[2:3], s[0:1], 0x0
	s_load_dwordx2 s[8:9], s[18:19], 0x0
	;; [unrolled: 1-line block ×3, first 2 shown]
	v_cmp_lt_i64_e64 s[10:11], s[6:7], 2
	v_cmp_gt_i64_e64 s[26:27], s[6:7], 1
	s_waitcnt lgkmcnt(0)
	v_pk_mov_b32 v[0:1], s[2:3], s[2:3] op_sel:[0,1]
	v_cmp_ge_f64_e64 s[0:1], s[8:9], v[0:1]
	s_and_b64 s[12:13], s[0:1], exec
	s_cselect_b32 s3, s9, s3
	s_cselect_b32 s2, s8, s2
	s_bitset0_b32 s3, 31
	s_and_b64 vcc, exec, s[10:11]
	v_pk_mov_b32 v[0:1], s[2:3], s[2:3] op_sel:[0,1]
	s_cbranch_vccnz .LBB36_3
; %bb.1:
	s_add_i32 s7, s6, -2
	s_mov_b32 s8, 1
	v_pk_mov_b32 v[0:1], s[2:3], s[2:3] op_sel:[0,1]
	v_pk_mov_b32 v[2:3], s[2:3], s[2:3] op_sel:[0,1]
.LBB36_2:                               ; =>This Inner Loop Header: Depth=1
	s_and_b64 s[2:3], s[0:1], exec
	s_cselect_b32 s2, s8, s7
	s_add_i32 s3, s8, -1
	s_and_b64 s[10:11], s[0:1], exec
	s_cselect_b32 s10, s3, s7
	s_ashr_i32 s11, s10, 31
	s_lshl_b64 s[10:11], s[10:11], 3
	s_add_u32 s10, s22, s10
	s_addc_u32 s11, s23, s11
	s_load_dwordx2 s[10:11], s[10:11], 0x0
	s_ashr_i32 s3, s2, 31
	s_lshl_b64 s[2:3], s[2:3], 3
	s_add_u32 s2, s18, s2
	s_addc_u32 s3, s19, s3
	s_waitcnt lgkmcnt(0)
	v_add_f64 v[4:5], v[2:3], |s[10:11]|
	v_div_scale_f64 v[6:7], s[10:11], v[4:5], v[4:5], v[2:3]
	v_rcp_f64_e32 v[8:9], v[6:7]
	s_load_dwordx2 s[2:3], s[2:3], 0x0
	v_div_scale_f64 v[10:11], vcc, v[2:3], v[4:5], v[2:3]
	v_fma_f64 v[12:13], -v[6:7], v[8:9], 1.0
	v_fmac_f64_e32 v[8:9], v[8:9], v[12:13]
	v_fma_f64 v[12:13], -v[6:7], v[8:9], 1.0
	v_fmac_f64_e32 v[8:9], v[8:9], v[12:13]
	v_mul_f64 v[12:13], v[10:11], v[8:9]
	v_fma_f64 v[6:7], -v[6:7], v[12:13], v[10:11]
	v_div_fmas_f64 v[6:7], v[6:7], v[8:9], v[12:13]
	v_div_fixup_f64 v[2:3], v[6:7], v[4:5], v[2:3]
	s_waitcnt lgkmcnt(0)
	v_mul_f64 v[2:3], |s[2:3]|, v[2:3]
	s_add_i32 s7, s7, -1
	s_add_i32 s8, s8, 1
	v_cmp_lt_f64_e32 vcc, v[2:3], v[0:1]
	s_cmp_lg_u32 s8, s6
	v_cndmask_b32_e32 v1, v1, v3, vcc
	v_cndmask_b32_e32 v0, v0, v2, vcc
	s_cbranch_scc1 .LBB36_2
.LBB36_3:
	s_load_dwordx8 s[8:15], s[4:5], 0x38
	s_load_dwordx4 s[0:3], s[4:5], 0x58
	s_lshl_b32 s31, s6, 1
	s_mul_i32 s28, s31, s16
	s_ashr_i32 s29, s28, 31
	s_lshl_b64 s[34:35], s[28:29], 2
	s_waitcnt lgkmcnt(0)
	s_add_u32 s29, s12, s34
	s_addc_u32 s30, s13, s35
	s_mov_b32 s34, 0
	v_cvt_f64_i32_e32 v[2:3], s6
	s_brev_b32 s35, 8
	v_cmp_gt_f64_e32 vcc, s[34:35], v[2:3]
	v_cndmask_b32_e64 v4, 0, 1, vcc
	v_lshlrev_b32_e32 v4, 8, v4
	v_ldexp_f64 v[2:3], v[2:3], v4
	v_rsq_f64_e32 v[4:5], v[2:3]
	s_mul_i32 s1, s16, s1
	s_mul_hi_u32 s7, s16, s0
	s_add_i32 s1, s7, s1
	s_mul_i32 s7, s17, s0
	v_mul_f64 v[8:9], v[2:3], v[4:5]
	v_mul_f64 v[4:5], v[4:5], 0.5
	s_add_i32 s1, s1, s7
	s_mul_i32 s0, s16, s0
	v_fma_f64 v[10:11], -v[4:5], v[8:9], 0.5
	s_lshl_b64 s[0:1], s[0:1], 3
	v_fmac_f64_e32 v[8:9], v[8:9], v[10:11]
	s_add_u32 s12, s14, s0
	v_fma_f64 v[12:13], -v[8:9], v[8:9], v[2:3]
	v_fmac_f64_e32 v[4:5], v[4:5], v[10:11]
	s_addc_u32 s13, s15, s1
	s_add_i32 s7, s6, -1
	v_fmac_f64_e32 v[8:9], v[12:13], v[4:5]
	v_fma_f64 v[10:11], -v[8:9], v[8:9], v[2:3]
	s_and_b64 s[0:1], vcc, exec
	v_fmac_f64_e32 v[8:9], v[10:11], v[4:5]
	s_cselect_b32 s0, 0xffffff80, 0
	v_ldexp_f64 v[4:5], v[8:9], s0
	v_mov_b32_e32 v8, 0x260
	v_cmp_class_f64_e32 vcc, v[2:3], v8
	v_mul_f64 v[6:7], v[0:1], s[10:11]
	v_cndmask_b32_e32 v3, v5, v3, vcc
	v_cndmask_b32_e32 v2, v4, v2, vcc
	v_div_scale_f64 v[8:9], s[0:1], v[2:3], v[2:3], v[6:7]
	v_rcp_f64_e32 v[10:11], v[8:9]
	s_load_dword s0, s[4:5], 0x30
	v_mov_b32_e32 v4, 0
	s_mov_b32 s28, 0
	v_fma_f64 v[12:13], -v[8:9], v[10:11], 1.0
	v_fmac_f64_e32 v[10:11], v[10:11], v[12:13]
	v_fma_f64 v[12:13], -v[8:9], v[10:11], 1.0
	v_fmac_f64_e32 v[10:11], v[10:11], v[12:13]
	v_div_scale_f64 v[12:13], vcc, v[6:7], v[2:3], v[6:7]
	v_mul_f64 v[14:15], v[12:13], v[10:11]
	v_fma_f64 v[8:9], -v[8:9], v[14:15], v[12:13]
	s_mov_b64 s[4:5], 0
	s_nop 0
	v_div_fmas_f64 v[8:9], v[8:9], v[10:11], v[14:15]
	v_div_fixup_f64 v[2:3], v[8:9], v[2:3], v[6:7]
	s_waitcnt lgkmcnt(0)
	v_cvt_f64_i32_e32 v[6:7], s0
	v_mul_f64 v[6:7], v[6:7], s[8:9]
	v_cmp_lt_f64_e32 vcc, v[2:3], v[6:7]
	v_cndmask_b32_e32 v3, v3, v7, vcc
	v_cndmask_b32_e32 v2, v2, v6, vcc
	global_store_dwordx4 v4, v[0:3], s[12:13]
	s_andn2_b64 vcc, exec, s[26:27]
	v_cndmask_b32_e64 v0, 0, 1, s[26:27]
	v_cmp_ne_u32_e64 s[0:1], 1, v0
	s_mov_b32 s8, 0
	s_cbranch_vccnz .LBB36_20
; %bb.4:
	s_add_u32 s33, s29, 4
	s_mov_b32 s11, 0
	s_addc_u32 s34, s30, 0
	s_movk_i32 s35, 0x1f8
	s_mov_b32 s8, s11
	s_mov_b32 s10, s11
	s_lshl_b32 s14, s10, 2
	s_or_b32 s9, s14, 3
	s_cmp_ge_i32 s9, s31
	s_cbranch_scc1 .LBB36_6
.LBB36_5:
	s_mov_b32 s15, s11
	s_lshl_b64 s[14:15], s[14:15], 2
	s_add_u32 s14, s29, s14
	s_addc_u32 s15, s30, s15
	v_mov_b32_e32 v5, v4
	v_mov_b32_e32 v6, v4
	;; [unrolled: 1-line block ×3, first 2 shown]
	global_store_dwordx4 v4, v[4:7], s[14:15]
	s_waitcnt vmcnt(0)
	buffer_wbinvl1_vol
.LBB36_6:                               ; =>This Inner Loop Header: Depth=1
	s_lshl_b64 s[14:15], s[10:11], 3
	s_add_u32 s26, s18, s14
	s_addc_u32 s27, s19, s15
	global_load_dwordx2 v[6:7], v4, s[26:27]
	s_add_u32 s14, s22, s14
	s_addc_u32 s15, s23, s15
	global_load_dwordx2 v[0:1], v4, s[14:15]
	s_waitcnt vmcnt(1)
	v_cmp_class_f64_e64 s[26:27], v[6:7], s35
	s_and_b64 vcc, exec, s[26:27]
	s_cbranch_vccz .LBB36_19
; %bb.7:                                ;   in Loop: Header=BB36_6 Depth=1
	s_waitcnt vmcnt(0)
	v_cmp_class_f64_e64 s[26:27], v[0:1], s35
	s_and_b64 vcc, exec, s[26:27]
	s_cbranch_vccnz .LBB36_9
; %bb.8:                                ;   in Loop: Header=BB36_6 Depth=1
	s_mov_b64 s[4:5], -1
.LBB36_9:                               ;   in Loop: Header=BB36_6 Depth=1
	v_and_b32_e32 v7, 0x7fffffff, v1
	v_mov_b32_e32 v6, v0
	s_cbranch_execnz .LBB36_11
.LBB36_10:                              ;   in Loop: Header=BB36_6 Depth=1
	s_waitcnt vmcnt(0)
	v_and_b32_e32 v1, 0x7fffffff, v1
	s_mov_b64 s[4:5], -1
	v_pk_mov_b32 v[6:7], v[0:1], v[0:1] op_sel:[0,1]
.LBB36_11:                              ;   in Loop: Header=BB36_6 Depth=1
	v_cmp_lt_f64_e32 vcc, v[6:7], v[2:3]
	s_mov_b64 s[26:27], -1
                                        ; implicit-def: $sgpr9
	s_cbranch_vccz .LBB36_14
; %bb.12:                               ;   in Loop: Header=BB36_6 Depth=1
	s_andn2_b64 vcc, exec, s[26:27]
	s_cbranch_vccz .LBB36_15
.LBB36_13:                              ;   in Loop: Header=BB36_6 Depth=1
	s_cmp_eq_u32 s9, s7
	s_cbranch_scc0 .LBB36_18
	s_branch .LBB36_20
.LBB36_14:                              ;   in Loop: Header=BB36_6 Depth=1
	s_add_i32 s9, s10, 1
	s_cbranch_execnz .LBB36_13
.LBB36_15:                              ;   in Loop: Header=BB36_6 Depth=1
	v_mov_b32_e32 v5, v4
	s_cmp_ge_i32 s8, s10
	global_store_dwordx2 v4, v[4:5], s[14:15]
	s_cbranch_scc1 .LBB36_17
; %bb.16:                               ;   in Loop: Header=BB36_6 Depth=1
	s_lshl_b32 s14, s28, 2
	s_ashr_i32 s15, s14, 31
	s_lshl_b64 s[14:15], s[14:15], 2
	s_mov_b32 s9, s10
	s_add_u32 s14, s33, s14
	s_addc_u32 s15, s34, s15
	s_waitcnt vmcnt(1)
	v_pk_mov_b32 v[0:1], s[8:9], s[8:9] op_sel:[0,1]
	s_add_i32 s28, s28, 1
	global_store_dwordx2 v4, v[0:1], s[14:15]
.LBB36_17:                              ;   in Loop: Header=BB36_6 Depth=1
	s_add_i32 s9, s10, 1
	s_mov_b32 s8, s9
	s_cmp_eq_u32 s9, s7
	s_cbranch_scc1 .LBB36_20
.LBB36_18:                              ;   in Loop: Header=BB36_6 Depth=1
	s_mov_b32 s10, s9
	s_lshl_b32 s14, s10, 2
	s_or_b32 s9, s14, 3
	s_cmp_ge_i32 s9, s31
	s_cbranch_scc0 .LBB36_5
	s_branch .LBB36_6
.LBB36_19:                              ;   in Loop: Header=BB36_6 Depth=1
                                        ; implicit-def: $sgpr4_sgpr5
                                        ; implicit-def: $vgpr6_vgpr7
	s_branch .LBB36_10
.LBB36_20:
	v_mov_b32_e32 v2, 0
	global_load_dwordx2 v[0:1], v2, s[20:21] offset:-8
	s_cmp_lt_i32 s8, s7
	s_cbranch_scc0 .LBB36_22
; %bb.21:
	s_lshl_b32 s10, s28, 2
	s_ashr_i32 s11, s10, 31
	s_lshl_b64 s[10:11], s[10:11], 2
	s_add_u32 s10, s29, s10
	s_addc_u32 s11, s30, s11
	v_mov_b32_e32 v4, s8
	v_mov_b32_e32 v5, s7
	global_store_dwordx2 v2, v[4:5], s[10:11] offset:4
.LBB36_22:
	s_mov_b32 s8, 0
	s_mov_b32 s9, 0x7ff00000
	s_waitcnt vmcnt(0)
	v_cmp_nlg_f64_e64 s[8:9], |v[0:1]|, s[8:9]
	s_or_b64 s[4:5], s[8:9], s[4:5]
	s_andn2_b64 vcc, exec, s[4:5]
	s_mov_b64 s[4:5], -1
	s_cbranch_vccz .LBB36_28
; %bb.23:
	s_add_i32 s8, s28, 1
	s_lshl_b64 s[4:5], s[16:17], 2
	s_add_u32 s4, s24, s4
	v_mov_b32_e32 v2, 0
	s_addc_u32 s5, s25, s5
	v_cvt_f64_i32_e32 v[0:1], s8
	v_mov_b32_e32 v3, v2
	s_cmp_lt_i32 s28, 0
	global_store_dwordx4 v2, v[0:3], s[12:13] offset:16
	global_store_dword v2, v2, s[4:5]
	s_cbranch_scc1 .LBB36_27
; %bb.24:
	s_mov_b64 s[4:5], 0
	v_mov_b32_e32 v1, 0
.LBB36_25:                              ; =>This Inner Loop Header: Depth=1
	v_mov_b32_e32 v0, s8
	global_atomic_cmpswap v1, v2, v[0:1], s[2:3] offset:4 glc
	s_waitcnt vmcnt(0)
	v_cmp_lt_i32_e32 vcc, s28, v1
	s_or_b64 s[4:5], vcc, s[4:5]
	s_andn2_b64 exec, exec, s[4:5]
	s_cbranch_execnz .LBB36_25
; %bb.26:
	s_or_b64 exec, exec, s[4:5]
.LBB36_27:
	s_mov_b64 s[4:5], 0
.LBB36_28:
	s_andn2_b64 vcc, exec, s[4:5]
	s_cbranch_vccnz .LBB36_34
; %bb.29:
	s_and_b64 vcc, exec, s[0:1]
	s_cbranch_vccnz .LBB36_32
; %bb.30:
	s_mov_b32 s0, 0
	s_mov_b32 s1, 0x7ff80000
	v_mov_b32_e32 v2, 0
	v_pk_mov_b32 v[0:1], s[0:1], s[0:1] op_sel:[0,1]
.LBB36_31:                              ; =>This Inner Loop Header: Depth=1
	s_add_i32 s7, s7, -1
	global_store_dwordx2 v2, v[0:1], s[18:19]
	global_store_dwordx2 v2, v[0:1], s[22:23]
	s_add_u32 s18, s18, 8
	s_addc_u32 s19, s19, 0
	s_add_u32 s22, s22, 8
	s_addc_u32 s23, s23, 0
	s_cmp_eq_u32 s7, 0
	s_cbranch_scc0 .LBB36_31
.LBB36_32:
	s_lshl_b64 s[4:5], s[16:17], 2
	s_add_u32 s8, s24, s4
	v_mov_b32_e32 v0, 0
	v_mov_b32_e32 v1, 0x7ff80000
	s_addc_u32 s9, s25, s5
	global_store_dwordx2 v0, v[0:1], s[20:21] offset:-8
	v_mov_b32_e32 v1, s6
	s_add_u32 s4, s2, s4
	s_mov_b64 s[0:1], exec
	global_store_dword v0, v1, s[8:9]
	s_addc_u32 s5, s3, s5
	v_mov_b32_e32 v1, 2
	global_store_dword v0, v1, s[4:5] offset:8
	v_mbcnt_lo_u32_b32 v1, s0, 0
	v_mbcnt_hi_u32_b32 v1, s1, v1
	v_cmp_eq_u32_e32 vcc, 0, v1
	s_and_saveexec_b64 s[4:5], vcc
	s_cbranch_execz .LBB36_34
; %bb.33:
	s_bcnt1_i32_b64 s0, s[0:1]
	v_mov_b32_e32 v1, s0
	global_atomic_add v0, v1, s[2:3]
.LBB36_34:
	s_endpgm
	.section	.rodata,"a",@progbits
	.p2align	6, 0x0
	.amdhsa_kernel _ZN9rocsolver6v33100L10bdsqr_initI19rocblas_complex_numIdEdEEviPT0_lS5_lPiiS4_S4_S6_S5_lS6_
		.amdhsa_group_segment_fixed_size 0
		.amdhsa_private_segment_fixed_size 0
		.amdhsa_kernarg_size 104
		.amdhsa_user_sgpr_count 6
		.amdhsa_user_sgpr_private_segment_buffer 1
		.amdhsa_user_sgpr_dispatch_ptr 0
		.amdhsa_user_sgpr_queue_ptr 0
		.amdhsa_user_sgpr_kernarg_segment_ptr 1
		.amdhsa_user_sgpr_dispatch_id 0
		.amdhsa_user_sgpr_flat_scratch_init 0
		.amdhsa_user_sgpr_kernarg_preload_length 0
		.amdhsa_user_sgpr_kernarg_preload_offset 0
		.amdhsa_user_sgpr_private_segment_size 0
		.amdhsa_uses_dynamic_stack 0
		.amdhsa_system_sgpr_private_segment_wavefront_offset 0
		.amdhsa_system_sgpr_workgroup_id_x 1
		.amdhsa_system_sgpr_workgroup_id_y 1
		.amdhsa_system_sgpr_workgroup_id_z 0
		.amdhsa_system_sgpr_workgroup_info 0
		.amdhsa_system_vgpr_workitem_id 0
		.amdhsa_next_free_vgpr 16
		.amdhsa_next_free_sgpr 36
		.amdhsa_accum_offset 16
		.amdhsa_reserve_vcc 1
		.amdhsa_reserve_flat_scratch 0
		.amdhsa_float_round_mode_32 0
		.amdhsa_float_round_mode_16_64 0
		.amdhsa_float_denorm_mode_32 3
		.amdhsa_float_denorm_mode_16_64 3
		.amdhsa_dx10_clamp 1
		.amdhsa_ieee_mode 1
		.amdhsa_fp16_overflow 0
		.amdhsa_tg_split 0
		.amdhsa_exception_fp_ieee_invalid_op 0
		.amdhsa_exception_fp_denorm_src 0
		.amdhsa_exception_fp_ieee_div_zero 0
		.amdhsa_exception_fp_ieee_overflow 0
		.amdhsa_exception_fp_ieee_underflow 0
		.amdhsa_exception_fp_ieee_inexact 0
		.amdhsa_exception_int_div_zero 0
	.end_amdhsa_kernel
	.section	.text._ZN9rocsolver6v33100L10bdsqr_initI19rocblas_complex_numIdEdEEviPT0_lS5_lPiiS4_S4_S6_S5_lS6_,"axG",@progbits,_ZN9rocsolver6v33100L10bdsqr_initI19rocblas_complex_numIdEdEEviPT0_lS5_lPiiS4_S4_S6_S5_lS6_,comdat
.Lfunc_end36:
	.size	_ZN9rocsolver6v33100L10bdsqr_initI19rocblas_complex_numIdEdEEviPT0_lS5_lPiiS4_S4_S6_S5_lS6_, .Lfunc_end36-_ZN9rocsolver6v33100L10bdsqr_initI19rocblas_complex_numIdEdEEviPT0_lS5_lPiiS4_S4_S6_S5_lS6_
                                        ; -- End function
	.section	.AMDGPU.csdata,"",@progbits
; Kernel info:
; codeLenInByte = 1584
; NumSgprs: 40
; NumVgprs: 16
; NumAgprs: 0
; TotalNumVgprs: 16
; ScratchSize: 0
; MemoryBound: 0
; FloatMode: 240
; IeeeMode: 1
; LDSByteSize: 0 bytes/workgroup (compile time only)
; SGPRBlocks: 4
; VGPRBlocks: 1
; NumSGPRsForWavesPerEU: 40
; NumVGPRsForWavesPerEU: 16
; AccumOffset: 16
; Occupancy: 8
; WaveLimiterHint : 0
; COMPUTE_PGM_RSRC2:SCRATCH_EN: 0
; COMPUTE_PGM_RSRC2:USER_SGPR: 6
; COMPUTE_PGM_RSRC2:TRAP_HANDLER: 0
; COMPUTE_PGM_RSRC2:TGID_X_EN: 1
; COMPUTE_PGM_RSRC2:TGID_Y_EN: 1
; COMPUTE_PGM_RSRC2:TGID_Z_EN: 0
; COMPUTE_PGM_RSRC2:TIDIG_COMP_CNT: 0
; COMPUTE_PGM_RSRC3_GFX90A:ACCUM_OFFSET: 3
; COMPUTE_PGM_RSRC3_GFX90A:TG_SPLIT: 0
	.section	.text._ZN9rocsolver6v33100L11swap_kernelI19rocblas_complex_numIdEiEEvT0_PT_S4_S6_S4_,"axG",@progbits,_ZN9rocsolver6v33100L11swap_kernelI19rocblas_complex_numIdEiEEvT0_PT_S4_S6_S4_,comdat
	.globl	_ZN9rocsolver6v33100L11swap_kernelI19rocblas_complex_numIdEiEEvT0_PT_S4_S6_S4_ ; -- Begin function _ZN9rocsolver6v33100L11swap_kernelI19rocblas_complex_numIdEiEEvT0_PT_S4_S6_S4_
	.p2align	8
	.type	_ZN9rocsolver6v33100L11swap_kernelI19rocblas_complex_numIdEiEEvT0_PT_S4_S6_S4_,@function
_ZN9rocsolver6v33100L11swap_kernelI19rocblas_complex_numIdEiEEvT0_PT_S4_S6_S4_: ; @_ZN9rocsolver6v33100L11swap_kernelI19rocblas_complex_numIdEiEEvT0_PT_S4_S6_S4_
; %bb.0:
	s_load_dword s16, s[6:7], 0x0
	s_waitcnt lgkmcnt(0)
	s_cmp_lt_i32 s16, 1
	s_cbranch_scc1 .LBB37_10
; %bb.1:
	s_load_dwordx2 s[0:1], s[4:5], 0x4
	s_load_dwordx2 s[2:3], s[6:7], 0x8
	s_load_dword s12, s[6:7], 0x10
	s_load_dwordx2 s[10:11], s[6:7], 0x18
	s_load_dword s9, s[6:7], 0x20
	s_waitcnt lgkmcnt(0)
	s_lshr_b32 s0, s0, 16
	s_mul_i32 s0, s0, s1
	v_and_b32_e32 v2, 0x3ff, v0
	v_mul_lo_u32 v1, s0, v2
	s_load_dword s0, s[6:7], 0x28
	s_load_dword s4, s[6:7], 0x34
	v_bfe_u32 v3, v0, 10, 10
	v_mul_u32_u24_e32 v3, s1, v3
	v_bfe_u32 v0, v0, 20, 10
	v_add3_u32 v1, v1, v3, v0
	s_waitcnt lgkmcnt(0)
	s_and_b32 s1, s4, 0xffff
	s_cmp_eq_u32 s12, 1
	s_mul_i32 s8, s8, s1
	s_mul_i32 s4, s0, s1
	s_cselect_b64 s[0:1], -1, 0
	s_cmp_eq_u32 s9, 1
	s_cselect_b64 s[6:7], -1, 0
	v_add_u32_e32 v0, s8, v2
	s_and_b64 s[14:15], s[0:1], s[6:7]
	v_cmp_gt_i32_e64 s[0:1], s16, v0
	s_mov_b64 s[6:7], -1
	s_and_b64 vcc, exec, s[14:15]
	s_cbranch_vccnz .LBB37_6
; %bb.2:
	s_and_saveexec_b64 s[6:7], s[0:1]
	s_cbranch_execz .LBB37_5
; %bb.3:
	v_mad_i64_i32 v[2:3], s[14:15], s9, v0, 0
	v_lshlrev_b64 v[2:3], 4, v[2:3]
	v_mov_b32_e32 v4, s11
	v_add_co_u32_e32 v2, vcc, s10, v2
	s_mul_hi_i32 s15, s9, s4
	s_mul_i32 s14, s9, s4
	v_addc_co_u32_e32 v3, vcc, v4, v3, vcc
	s_lshl_b64 s[8:9], s[14:15], 4
	v_mad_i64_i32 v[4:5], s[14:15], s12, v0, 0
	v_lshlrev_b64 v[4:5], 4, v[4:5]
	s_mul_hi_i32 s13, s12, s4
	s_mul_i32 s12, s12, s4
	v_mov_b32_e32 v7, s3
	v_add_co_u32_e32 v4, vcc, s2, v4
	s_lshl_b64 s[12:13], s[12:13], 4
	v_lshlrev_b32_e32 v6, 4, v1
	v_addc_co_u32_e32 v5, vcc, v7, v5, vcc
	s_mov_b64 s[14:15], 0
	v_mov_b32_e32 v7, s9
	v_mov_b32_e32 v8, s13
	;; [unrolled: 1-line block ×3, first 2 shown]
.LBB37_4:                               ; =>This Inner Loop Header: Depth=1
	global_load_dwordx4 v[10:13], v[2:3], off
	global_load_dwordx4 v[14:17], v[4:5], off
	v_add_u32_e32 v9, s4, v9
	v_cmp_le_i32_e32 vcc, s16, v9
	s_or_b64 s[14:15], vcc, s[14:15]
	s_waitcnt vmcnt(1)
	ds_write2_b64 v6, v[10:11], v[12:13] offset1:1
	s_waitcnt vmcnt(0)
	global_store_dwordx4 v[2:3], v[14:17], off
	global_store_dwordx4 v[4:5], v[10:13], off
	v_add_co_u32_e32 v2, vcc, s8, v2
	v_addc_co_u32_e32 v3, vcc, v3, v7, vcc
	v_add_co_u32_e32 v4, vcc, s12, v4
	v_addc_co_u32_e32 v5, vcc, v5, v8, vcc
	s_andn2_b64 exec, exec, s[14:15]
	s_cbranch_execnz .LBB37_4
.LBB37_5:
	s_or_b64 exec, exec, s[6:7]
	s_mov_b64 s[6:7], 0
.LBB37_6:
	s_andn2_b64 vcc, exec, s[6:7]
	s_cbranch_vccnz .LBB37_10
; %bb.7:
	s_and_saveexec_b64 s[6:7], s[0:1]
	s_cbranch_execz .LBB37_10
; %bb.8:
	v_mov_b32_e32 v2, 0x4000
	s_ashr_i32 s5, s4, 31
	v_lshl_add_u32 v4, v1, 4, v2
	v_ashrrev_i32_e32 v1, 31, v0
	s_lshl_b64 s[0:1], s[4:5], 4
	v_lshlrev_b64 v[2:3], 4, v[0:1]
	s_mov_b64 s[6:7], 0
	v_mov_b32_e32 v1, s11
	v_mov_b32_e32 v5, s3
	;; [unrolled: 1-line block ×3, first 2 shown]
.LBB37_9:                               ; =>This Inner Loop Header: Depth=1
	v_add_co_u32_e32 v16, vcc, s10, v2
	v_addc_co_u32_e32 v17, vcc, v1, v3, vcc
	v_add_co_u32_e32 v18, vcc, s2, v2
	v_addc_co_u32_e32 v19, vcc, v5, v3, vcc
	global_load_dwordx4 v[8:11], v[16:17], off
	global_load_dwordx4 v[12:15], v[18:19], off
	v_add_co_u32_e32 v2, vcc, s0, v2
	v_add_u32_e32 v0, s4, v0
	v_addc_co_u32_e32 v3, vcc, v3, v6, vcc
	v_cmp_le_i32_e32 vcc, s16, v0
	s_or_b64 s[6:7], vcc, s[6:7]
	s_waitcnt vmcnt(1)
	ds_write2_b64 v4, v[8:9], v[10:11] offset1:1
	s_waitcnt vmcnt(0)
	global_store_dwordx4 v[16:17], v[12:15], off
	global_store_dwordx4 v[18:19], v[8:11], off
	s_andn2_b64 exec, exec, s[6:7]
	s_cbranch_execnz .LBB37_9
.LBB37_10:
	s_endpgm
	.section	.rodata,"a",@progbits
	.p2align	6, 0x0
	.amdhsa_kernel _ZN9rocsolver6v33100L11swap_kernelI19rocblas_complex_numIdEiEEvT0_PT_S4_S6_S4_
		.amdhsa_group_segment_fixed_size 32768
		.amdhsa_private_segment_fixed_size 0
		.amdhsa_kernarg_size 296
		.amdhsa_user_sgpr_count 8
		.amdhsa_user_sgpr_private_segment_buffer 1
		.amdhsa_user_sgpr_dispatch_ptr 1
		.amdhsa_user_sgpr_queue_ptr 0
		.amdhsa_user_sgpr_kernarg_segment_ptr 1
		.amdhsa_user_sgpr_dispatch_id 0
		.amdhsa_user_sgpr_flat_scratch_init 0
		.amdhsa_user_sgpr_kernarg_preload_length 0
		.amdhsa_user_sgpr_kernarg_preload_offset 0
		.amdhsa_user_sgpr_private_segment_size 0
		.amdhsa_uses_dynamic_stack 0
		.amdhsa_system_sgpr_private_segment_wavefront_offset 0
		.amdhsa_system_sgpr_workgroup_id_x 1
		.amdhsa_system_sgpr_workgroup_id_y 0
		.amdhsa_system_sgpr_workgroup_id_z 0
		.amdhsa_system_sgpr_workgroup_info 0
		.amdhsa_system_vgpr_workitem_id 2
		.amdhsa_next_free_vgpr 20
		.amdhsa_next_free_sgpr 17
		.amdhsa_accum_offset 20
		.amdhsa_reserve_vcc 1
		.amdhsa_reserve_flat_scratch 0
		.amdhsa_float_round_mode_32 0
		.amdhsa_float_round_mode_16_64 0
		.amdhsa_float_denorm_mode_32 3
		.amdhsa_float_denorm_mode_16_64 3
		.amdhsa_dx10_clamp 1
		.amdhsa_ieee_mode 1
		.amdhsa_fp16_overflow 0
		.amdhsa_tg_split 0
		.amdhsa_exception_fp_ieee_invalid_op 0
		.amdhsa_exception_fp_denorm_src 0
		.amdhsa_exception_fp_ieee_div_zero 0
		.amdhsa_exception_fp_ieee_overflow 0
		.amdhsa_exception_fp_ieee_underflow 0
		.amdhsa_exception_fp_ieee_inexact 0
		.amdhsa_exception_int_div_zero 0
	.end_amdhsa_kernel
	.section	.text._ZN9rocsolver6v33100L11swap_kernelI19rocblas_complex_numIdEiEEvT0_PT_S4_S6_S4_,"axG",@progbits,_ZN9rocsolver6v33100L11swap_kernelI19rocblas_complex_numIdEiEEvT0_PT_S4_S6_S4_,comdat
.Lfunc_end37:
	.size	_ZN9rocsolver6v33100L11swap_kernelI19rocblas_complex_numIdEiEEvT0_PT_S4_S6_S4_, .Lfunc_end37-_ZN9rocsolver6v33100L11swap_kernelI19rocblas_complex_numIdEiEEvT0_PT_S4_S6_S4_
                                        ; -- End function
	.section	.AMDGPU.csdata,"",@progbits
; Kernel info:
; codeLenInByte = 560
; NumSgprs: 21
; NumVgprs: 20
; NumAgprs: 0
; TotalNumVgprs: 20
; ScratchSize: 0
; MemoryBound: 0
; FloatMode: 240
; IeeeMode: 1
; LDSByteSize: 32768 bytes/workgroup (compile time only)
; SGPRBlocks: 2
; VGPRBlocks: 2
; NumSGPRsForWavesPerEU: 21
; NumVGPRsForWavesPerEU: 20
; AccumOffset: 20
; Occupancy: 8
; WaveLimiterHint : 0
; COMPUTE_PGM_RSRC2:SCRATCH_EN: 0
; COMPUTE_PGM_RSRC2:USER_SGPR: 8
; COMPUTE_PGM_RSRC2:TRAP_HANDLER: 0
; COMPUTE_PGM_RSRC2:TGID_X_EN: 1
; COMPUTE_PGM_RSRC2:TGID_Y_EN: 0
; COMPUTE_PGM_RSRC2:TGID_Z_EN: 0
; COMPUTE_PGM_RSRC2:TIDIG_COMP_CNT: 2
; COMPUTE_PGM_RSRC3_GFX90A:ACCUM_OFFSET: 4
; COMPUTE_PGM_RSRC3_GFX90A:TG_SPLIT: 0
	.section	.text._ZN9rocsolver6v33100L10rot_kernelId19rocblas_complex_numIdEiEEvT1_PT0_S4_S6_S4_T_S7_,"axG",@progbits,_ZN9rocsolver6v33100L10rot_kernelId19rocblas_complex_numIdEiEEvT1_PT0_S4_S6_S4_T_S7_,comdat
	.globl	_ZN9rocsolver6v33100L10rot_kernelId19rocblas_complex_numIdEiEEvT1_PT0_S4_S6_S4_T_S7_ ; -- Begin function _ZN9rocsolver6v33100L10rot_kernelId19rocblas_complex_numIdEiEEvT1_PT0_S4_S6_S4_T_S7_
	.p2align	8
	.type	_ZN9rocsolver6v33100L10rot_kernelId19rocblas_complex_numIdEiEEvT1_PT0_S4_S6_S4_T_S7_,@function
_ZN9rocsolver6v33100L10rot_kernelId19rocblas_complex_numIdEiEEvT1_PT0_S4_S6_S4_T_S7_: ; @_ZN9rocsolver6v33100L10rot_kernelId19rocblas_complex_numIdEiEEvT1_PT0_S4_S6_S4_T_S7_
; %bb.0:
	s_load_dword s20, s[4:5], 0x0
	s_waitcnt lgkmcnt(0)
	s_cmp_lt_i32 s20, 1
	s_cbranch_scc1 .LBB38_10
; %bb.1:
	s_load_dwordx4 s[8:11], s[4:5], 0x28
	s_load_dword s0, s[4:5], 0x38
	s_load_dword s1, s[4:5], 0x44
	s_load_dwordx2 s[2:3], s[4:5], 0x8
	s_load_dword s16, s[4:5], 0x10
	s_load_dwordx2 s[12:13], s[4:5], 0x18
	s_load_dword s14, s[4:5], 0x20
	s_waitcnt lgkmcnt(0)
	s_and_b32 s1, s1, 0xffff
	s_mul_i32 s6, s6, s1
	s_cmp_eq_u32 s16, 1
	s_mul_i32 s4, s0, s1
	s_cselect_b64 s[0:1], -1, 0
	s_cmp_eq_u32 s14, 1
	v_add_u32_e32 v0, s6, v0
	s_cselect_b64 s[6:7], -1, 0
	s_and_b64 s[18:19], s[0:1], s[6:7]
	v_cmp_gt_i32_e64 s[0:1], s20, v0
	s_mov_b64 s[6:7], -1
	s_and_b64 vcc, exec, s[18:19]
	s_cbranch_vccnz .LBB38_6
; %bb.2:
	s_and_saveexec_b64 s[6:7], s[0:1]
	s_cbranch_execz .LBB38_5
; %bb.3:
	v_mad_i64_i32 v[2:3], s[18:19], s14, v0, 0
	v_lshlrev_b64 v[2:3], 4, v[2:3]
	v_mov_b32_e32 v1, s13
	v_add_co_u32_e32 v2, vcc, s12, v2
	v_addc_co_u32_e32 v1, vcc, v3, v1, vcc
	v_add_co_u32_e32 v2, vcc, 8, v2
	v_mad_i64_i32 v[4:5], s[18:19], s16, v0, 0
	v_addc_co_u32_e32 v3, vcc, 0, v1, vcc
	v_lshlrev_b64 v[4:5], 4, v[4:5]
	v_mov_b32_e32 v1, s3
	v_add_co_u32_e32 v4, vcc, s2, v4
	s_mul_hi_i32 s15, s14, s4
	s_mul_i32 s14, s14, s4
	v_addc_co_u32_e32 v1, vcc, v5, v1, vcc
	s_mul_hi_i32 s17, s16, s4
	s_mul_i32 s16, s16, s4
	s_lshl_b64 s[14:15], s[14:15], 4
	v_add_co_u32_e32 v4, vcc, 8, v4
	s_lshl_b64 s[16:17], s[16:17], 4
	v_addc_co_u32_e32 v5, vcc, 0, v1, vcc
	s_mov_b64 s[18:19], 0
	v_mov_b32_e32 v1, s15
	v_mov_b32_e32 v6, s17
	;; [unrolled: 1-line block ×3, first 2 shown]
.LBB38_4:                               ; =>This Inner Loop Header: Depth=1
	global_load_dwordx4 v[8:11], v[2:3], off offset:-8
	global_load_dwordx4 v[12:15], v[4:5], off offset:-8
	v_add_u32_e32 v7, s4, v7
	v_cmp_le_i32_e32 vcc, s20, v7
	s_or_b64 s[18:19], vcc, s[18:19]
	s_waitcnt vmcnt(1)
	v_mul_f64 v[16:17], v[8:9], s[10:11]
	s_waitcnt vmcnt(0)
	v_mul_f64 v[20:21], v[12:13], s[10:11]
	v_mul_f64 v[22:23], v[14:15], s[10:11]
	;; [unrolled: 1-line block ×3, first 2 shown]
	v_fma_f64 v[8:9], v[8:9], s[8:9], -v[20:21]
	v_fma_f64 v[10:11], v[10:11], s[8:9], -v[22:23]
	v_fmac_f64_e32 v[16:17], s[8:9], v[12:13]
	v_fmac_f64_e32 v[18:19], s[8:9], v[14:15]
	global_store_dwordx4 v[2:3], v[8:11], off offset:-8
	global_store_dwordx4 v[4:5], v[16:19], off offset:-8
	v_add_co_u32_e32 v2, vcc, s14, v2
	v_addc_co_u32_e32 v3, vcc, v3, v1, vcc
	v_add_co_u32_e32 v4, vcc, s16, v4
	v_addc_co_u32_e32 v5, vcc, v5, v6, vcc
	s_andn2_b64 exec, exec, s[18:19]
	s_cbranch_execnz .LBB38_4
.LBB38_5:
	s_or_b64 exec, exec, s[6:7]
	s_mov_b64 s[6:7], 0
.LBB38_6:
	s_andn2_b64 vcc, exec, s[6:7]
	s_cbranch_vccnz .LBB38_10
; %bb.7:
	s_and_saveexec_b64 s[6:7], s[0:1]
	s_cbranch_execz .LBB38_10
; %bb.8:
	s_ashr_i32 s5, s4, 31
	v_ashrrev_i32_e32 v1, 31, v0
	s_lshl_b64 s[0:1], s[4:5], 4
	v_lshlrev_b64 v[2:3], 4, v[0:1]
	s_mov_b64 s[6:7], 0
	v_mov_b32_e32 v1, s3
	v_mov_b32_e32 v4, s13
	;; [unrolled: 1-line block ×3, first 2 shown]
.LBB38_9:                               ; =>This Inner Loop Header: Depth=1
	v_add_co_u32_e32 v18, vcc, s2, v2
	v_addc_co_u32_e32 v19, vcc, v1, v3, vcc
	v_add_co_u32_e32 v20, vcc, s12, v2
	v_addc_co_u32_e32 v21, vcc, v4, v3, vcc
	global_load_dwordx4 v[6:9], v[20:21], off
	global_load_dwordx4 v[10:13], v[18:19], off
	v_add_co_u32_e32 v2, vcc, s0, v2
	v_add_u32_e32 v0, s4, v0
	v_addc_co_u32_e32 v3, vcc, v3, v5, vcc
	v_cmp_le_i32_e32 vcc, s20, v0
	s_or_b64 s[6:7], vcc, s[6:7]
	s_waitcnt vmcnt(1)
	v_mul_f64 v[14:15], v[6:7], s[10:11]
	s_waitcnt vmcnt(0)
	v_mul_f64 v[22:23], v[10:11], s[10:11]
	v_mul_f64 v[24:25], v[12:13], s[10:11]
	;; [unrolled: 1-line block ×3, first 2 shown]
	v_fma_f64 v[6:7], v[6:7], s[8:9], -v[22:23]
	v_fma_f64 v[8:9], v[8:9], s[8:9], -v[24:25]
	v_fmac_f64_e32 v[14:15], s[8:9], v[10:11]
	v_fmac_f64_e32 v[16:17], s[8:9], v[12:13]
	global_store_dwordx4 v[20:21], v[6:9], off
	global_store_dwordx4 v[18:19], v[14:17], off
	s_andn2_b64 exec, exec, s[6:7]
	s_cbranch_execnz .LBB38_9
.LBB38_10:
	s_endpgm
	.section	.rodata,"a",@progbits
	.p2align	6, 0x0
	.amdhsa_kernel _ZN9rocsolver6v33100L10rot_kernelId19rocblas_complex_numIdEiEEvT1_PT0_S4_S6_S4_T_S7_
		.amdhsa_group_segment_fixed_size 0
		.amdhsa_private_segment_fixed_size 0
		.amdhsa_kernarg_size 312
		.amdhsa_user_sgpr_count 6
		.amdhsa_user_sgpr_private_segment_buffer 1
		.amdhsa_user_sgpr_dispatch_ptr 0
		.amdhsa_user_sgpr_queue_ptr 0
		.amdhsa_user_sgpr_kernarg_segment_ptr 1
		.amdhsa_user_sgpr_dispatch_id 0
		.amdhsa_user_sgpr_flat_scratch_init 0
		.amdhsa_user_sgpr_kernarg_preload_length 0
		.amdhsa_user_sgpr_kernarg_preload_offset 0
		.amdhsa_user_sgpr_private_segment_size 0
		.amdhsa_uses_dynamic_stack 0
		.amdhsa_system_sgpr_private_segment_wavefront_offset 0
		.amdhsa_system_sgpr_workgroup_id_x 1
		.amdhsa_system_sgpr_workgroup_id_y 0
		.amdhsa_system_sgpr_workgroup_id_z 0
		.amdhsa_system_sgpr_workgroup_info 0
		.amdhsa_system_vgpr_workitem_id 0
		.amdhsa_next_free_vgpr 26
		.amdhsa_next_free_sgpr 21
		.amdhsa_accum_offset 28
		.amdhsa_reserve_vcc 1
		.amdhsa_reserve_flat_scratch 0
		.amdhsa_float_round_mode_32 0
		.amdhsa_float_round_mode_16_64 0
		.amdhsa_float_denorm_mode_32 3
		.amdhsa_float_denorm_mode_16_64 3
		.amdhsa_dx10_clamp 1
		.amdhsa_ieee_mode 1
		.amdhsa_fp16_overflow 0
		.amdhsa_tg_split 0
		.amdhsa_exception_fp_ieee_invalid_op 0
		.amdhsa_exception_fp_denorm_src 0
		.amdhsa_exception_fp_ieee_div_zero 0
		.amdhsa_exception_fp_ieee_overflow 0
		.amdhsa_exception_fp_ieee_underflow 0
		.amdhsa_exception_fp_ieee_inexact 0
		.amdhsa_exception_int_div_zero 0
	.end_amdhsa_kernel
	.section	.text._ZN9rocsolver6v33100L10rot_kernelId19rocblas_complex_numIdEiEEvT1_PT0_S4_S6_S4_T_S7_,"axG",@progbits,_ZN9rocsolver6v33100L10rot_kernelId19rocblas_complex_numIdEiEEvT1_PT0_S4_S6_S4_T_S7_,comdat
.Lfunc_end38:
	.size	_ZN9rocsolver6v33100L10rot_kernelId19rocblas_complex_numIdEiEEvT1_PT0_S4_S6_S4_T_S7_, .Lfunc_end38-_ZN9rocsolver6v33100L10rot_kernelId19rocblas_complex_numIdEiEEvT1_PT0_S4_S6_S4_T_S7_
                                        ; -- End function
	.section	.AMDGPU.csdata,"",@progbits
; Kernel info:
; codeLenInByte = 596
; NumSgprs: 25
; NumVgprs: 26
; NumAgprs: 0
; TotalNumVgprs: 26
; ScratchSize: 0
; MemoryBound: 0
; FloatMode: 240
; IeeeMode: 1
; LDSByteSize: 0 bytes/workgroup (compile time only)
; SGPRBlocks: 3
; VGPRBlocks: 3
; NumSGPRsForWavesPerEU: 25
; NumVGPRsForWavesPerEU: 26
; AccumOffset: 28
; Occupancy: 8
; WaveLimiterHint : 0
; COMPUTE_PGM_RSRC2:SCRATCH_EN: 0
; COMPUTE_PGM_RSRC2:USER_SGPR: 6
; COMPUTE_PGM_RSRC2:TRAP_HANDLER: 0
; COMPUTE_PGM_RSRC2:TGID_X_EN: 1
; COMPUTE_PGM_RSRC2:TGID_Y_EN: 0
; COMPUTE_PGM_RSRC2:TGID_Z_EN: 0
; COMPUTE_PGM_RSRC2:TIDIG_COMP_CNT: 0
; COMPUTE_PGM_RSRC3_GFX90A:ACCUM_OFFSET: 6
; COMPUTE_PGM_RSRC3_GFX90A:TG_SPLIT: 0
	.section	.text._ZN9rocsolver6v33100L11lasr_kernelI19rocblas_complex_numIdEdPS3_iEEv13rocblas_side_14rocblas_pivot_15rocblas_direct_T2_S8_PT0_lSA_lT1_lS8_lS8_,"axG",@progbits,_ZN9rocsolver6v33100L11lasr_kernelI19rocblas_complex_numIdEdPS3_iEEv13rocblas_side_14rocblas_pivot_15rocblas_direct_T2_S8_PT0_lSA_lT1_lS8_lS8_,comdat
	.globl	_ZN9rocsolver6v33100L11lasr_kernelI19rocblas_complex_numIdEdPS3_iEEv13rocblas_side_14rocblas_pivot_15rocblas_direct_T2_S8_PT0_lSA_lT1_lS8_lS8_ ; -- Begin function _ZN9rocsolver6v33100L11lasr_kernelI19rocblas_complex_numIdEdPS3_iEEv13rocblas_side_14rocblas_pivot_15rocblas_direct_T2_S8_PT0_lSA_lT1_lS8_lS8_
	.p2align	8
	.type	_ZN9rocsolver6v33100L11lasr_kernelI19rocblas_complex_numIdEdPS3_iEEv13rocblas_side_14rocblas_pivot_15rocblas_direct_T2_S8_PT0_lSA_lT1_lS8_lS8_,@function
_ZN9rocsolver6v33100L11lasr_kernelI19rocblas_complex_numIdEdPS3_iEEv13rocblas_side_14rocblas_pivot_15rocblas_direct_T2_S8_PT0_lSA_lT1_lS8_lS8_: ; @_ZN9rocsolver6v33100L11lasr_kernelI19rocblas_complex_numIdEdPS3_iEEv13rocblas_side_14rocblas_pivot_15rocblas_direct_T2_S8_PT0_lSA_lT1_lS8_lS8_
; %bb.0:
	s_load_dword s33, s[4:5], 0x58
	s_waitcnt lgkmcnt(0)
	s_cmp_ge_u32 s7, s33
	s_cbranch_scc1 .LBB39_98
; %bb.1:
	s_load_dwordx4 s[0:3], s[4:5], 0x38
	s_load_dword s20, s[4:5], 0x48
	s_load_dwordx2 s[22:23], s[4:5], 0x50
	s_load_dword s26, s[4:5], 0x60
	s_load_dwordx2 s[24:25], s[4:5], 0x68
	s_load_dwordx4 s[16:19], s[4:5], 0x0
	s_load_dword s86, s[4:5], 0x10
	s_load_dwordx8 s[8:15], s[4:5], 0x18
	s_waitcnt lgkmcnt(0)
	s_ashr_i32 s21, s20, 31
	s_and_b32 s5, s25, 0xffff
	s_mul_i32 s6, s6, s5
	s_lshl_b64 s[2:3], s[2:3], 4
	v_add_u32_e32 v4, s6, v0
	s_add_u32 s6, s0, s2
	s_addc_u32 s25, s1, s3
	s_cmpk_lg_i32 s16, 0x8d
	s_cselect_b64 s[38:39], -1, 0
	s_cmpk_lg_i32 s16, 0x8e
	s_cselect_b64 s[44:45], -1, 0
	;; [unrolled: 2-line block ×6, first 2 shown]
	s_or_b64 s[28:29], s[38:39], s[42:43]
	s_or_b64 s[16:17], s[28:29], s[52:53]
	s_xor_b64 s[16:17], s[16:17], -1
	s_ashr_i32 s27, s19, 31
	s_add_i32 s62, s19, -2
	s_cmpk_lg_i32 s18, 0xac
	s_cselect_b64 s[54:55], -1, 0
	s_or_b64 s[28:29], s[28:29], s[54:55]
	s_xor_b64 s[28:29], s[28:29], -1
	s_cmp_gt_i32 s19, 1
	s_cselect_b64 s[30:31], -1, 0
	s_or_b64 s[36:37], s[38:39], s[50:51]
	s_or_b64 s[40:41], s[38:39], s[48:49]
	;; [unrolled: 1-line block ×9, first 2 shown]
	s_xor_b64 s[34:35], s[34:35], -1
	s_xor_b64 s[36:37], s[36:37], -1
	;; [unrolled: 1-line block ×5, first 2 shown]
	s_add_i32 s18, s86, -1
	s_xor_b64 s[46:47], s[46:47], -1
                                        ; implicit-def: $vgpr41 : SGPR spill to VGPR lane
	s_add_i32 s68, s86, -2
	v_writelane_b32 v41, s46, 0
	s_cmp_gt_i32 s86, 1
	v_writelane_b32 v41, s47, 1
	s_cselect_b64 s[46:47], -1, 0
	s_or_b64 s[50:51], s[44:45], s[50:51]
	s_or_b64 s[56:57], s[50:51], s[52:53]
	s_xor_b64 s[56:57], s[56:57], -1
	v_writelane_b32 v41, s56, 2
	s_or_b64 s[50:51], s[50:51], s[54:55]
	v_writelane_b32 v41, s57, 3
	s_xor_b64 s[50:51], s[50:51], -1
	s_or_b64 s[44:45], s[44:45], s[48:49]
	v_writelane_b32 v41, s50, 4
	s_or_b64 s[48:49], s[44:45], s[52:53]
	v_writelane_b32 v41, s51, 5
	s_xor_b64 s[48:49], s[48:49], -1
	v_writelane_b32 v41, s48, 6
	v_cmp_le_i32_e32 vcc, s19, v4
	v_writelane_b32 v41, s49, 7
	s_or_b64 s[48:49], s[54:55], vcc
	s_or_b64 s[44:45], s[44:45], s[48:49]
	s_xor_b64 s[44:45], s[44:45], -1
	s_mul_i32 s4, s26, s5
	v_writelane_b32 v41, s44, 8
	v_writelane_b32 v41, s45, 9
	s_mul_hi_i32 s45, s20, s4
	s_mul_i32 s44, s20, s4
	s_mov_b32 s63, 0
	s_add_i32 s56, s19, -1
	s_lshl_b64 s[14:15], s[14:15], 3
	s_lshl_b64 s[10:11], s[10:11], 3
	s_lshl_b64 s[58:59], s[22:23], 4
	s_ashr_i32 s5, s4, 31
	s_lshl_b64 s[60:61], s[44:45], 4
	s_lshl_b64 s[44:45], s[62:63], 3
	s_add_u32 s87, s8, s44
	s_addc_u32 s88, s9, s45
	s_add_u32 s89, s12, s44
	s_mul_i32 s26, s21, s68
	s_mul_hi_u32 s48, s20, s68
	s_addc_u32 s90, s13, s45
	s_mov_b32 s57, s63
	s_add_i32 s49, s48, s26
	s_mul_i32 s48, s20, s68
	s_mov_b32 s69, s63
	s_lshl_b64 s[44:45], s[62:63], 4
	s_lshl_b64 s[48:49], s[48:49], 4
	s_add_i32 s91, s19, 1
	s_lshl_b64 s[50:51], s[56:57], 4
	s_lshl_b64 s[62:63], s[4:5], 4
	;; [unrolled: 1-line block ×3, first 2 shown]
	s_add_u32 s5, s48, s2
	s_addc_u32 s26, s49, s3
	s_add_u32 s52, s0, s5
	s_mul_i32 s5, s21, s18
	s_mul_hi_u32 s21, s20, s18
	s_mul_i32 s66, s20, s18
	s_addc_u32 s26, s1, s26
	s_add_i32 s49, s21, s5
	s_mov_b32 s48, s66
	s_lshl_b64 s[48:49], s[48:49], 4
	s_add_u32 s5, s48, s2
	s_addc_u32 s21, s49, s3
	s_add_u32 s53, s0, s5
	s_addc_u32 s54, s1, s21
	s_lshl_b64 s[48:49], s[68:69], 3
	s_add_u32 s5, s8, s48
	s_addc_u32 s21, s9, s49
	s_add_u32 s57, s12, s48
	s_addc_u32 s92, s13, s49
	;; [unrolled: 2-line block ×4, first 2 shown]
	v_mad_i64_i32 v[0:1], s[0:1], s20, v4, 0
	v_lshlrev_b64 v[0:1], 4, v[0:1]
	v_mov_b32_e32 v2, s25
	v_add_co_u32_e32 v0, vcc, s6, v0
	v_addc_co_u32_e32 v1, vcc, v2, v1, vcc
	v_add_co_u32_e32 v18, vcc, 24, v0
	v_addc_co_u32_e32 v19, vcc, 0, v1, vcc
	v_mov_b32_e32 v2, s45
	v_add_co_u32_e32 v20, vcc, s44, v0
	v_addc_co_u32_e32 v21, vcc, v1, v2, vcc
	v_add_co_u32_e32 v22, vcc, 16, v0
	v_addc_co_u32_e32 v23, vcc, 0, v1, vcc
	;; [unrolled: 2-line block ×3, first 2 shown]
	v_mov_b32_e32 v0, s51
	v_add_co_u32_e32 v26, vcc, s50, v24
	v_addc_co_u32_e32 v27, vcc, v25, v0, vcc
	v_add_co_u32_e32 v28, vcc, 8, v20
	v_ashrrev_i32_e32 v5, 31, v4
	v_addc_co_u32_e32 v29, vcc, 0, v21, vcc
	v_lshlrev_b64 v[0:1], 4, v[4:5]
	v_mov_b32_e32 v2, s25
	v_add_co_u32_e32 v3, vcc, s6, v0
	v_addc_co_u32_e32 v2, vcc, v2, v1, vcc
	v_add_co_u32_e32 v30, vcc, 8, v3
	v_addc_co_u32_e32 v31, vcc, 0, v2, vcc
	v_mov_b32_e32 v2, s26
	v_add_co_u32_e32 v32, vcc, s52, v0
	v_addc_co_u32_e32 v33, vcc, v2, v1, vcc
	v_mov_b32_e32 v2, s54
	v_add_co_u32_e32 v3, vcc, s53, v0
	v_addc_co_u32_e32 v2, vcc, v2, v1, vcc
	v_add_co_u32_e32 v34, vcc, 8, v3
	v_addc_co_u32_e32 v35, vcc, 0, v2, vcc
	v_mov_b32_e32 v2, s3
	v_add_co_u32_e32 v0, vcc, s2, v0
	v_addc_co_u32_e32 v1, vcc, v2, v1, vcc
	v_add_co_u32_e32 v36, vcc, 8, v0
	v_addc_co_u32_e32 v37, vcc, 0, v1, vcc
	s_add_i32 s93, s86, 1
	v_add_co_u32_e32 v38, vcc, 8, v32
	s_sub_u32 s94, 0, s64
	v_addc_co_u32_e32 v39, vcc, 0, v33, vcc
	s_mov_b32 s26, s19
	s_mul_hi_i32 s67, s20, s18
	v_mov_b32_e32 v40, 0
	s_subb_u32 s95, 0, s65
	v_cmp_gt_i32_e64 s[0:1], s86, v4
	v_cmp_gt_i32_e64 s[2:3], s19, v4
	s_branch .LBB39_4
.LBB39_2:                               ;   in Loop: Header=BB39_4 Depth=1
	s_or_b64 exec, exec, s[68:69]
.LBB39_3:                               ;   in Loop: Header=BB39_4 Depth=1
	s_add_i32 s7, s7, s24
	s_cmp_ge_u32 s7, s33
	s_cbranch_scc1 .LBB39_98
.LBB39_4:                               ; =>This Loop Header: Depth=1
                                        ;     Child Loop BB39_8 Depth 2
                                        ;       Child Loop BB39_9 Depth 3
                                        ;     Child Loop BB39_16 Depth 2
                                        ;       Child Loop BB39_17 Depth 3
                                        ;     Child Loop BB39_24 Depth 2
                                        ;       Child Loop BB39_25 Depth 3
                                        ;     Child Loop BB39_32 Depth 2
                                        ;       Child Loop BB39_33 Depth 3
                                        ;     Child Loop BB39_40 Depth 2
                                        ;       Child Loop BB39_41 Depth 3
                                        ;     Child Loop BB39_48 Depth 2
                                        ;       Child Loop BB39_49 Depth 3
                                        ;     Child Loop BB39_56 Depth 2
                                        ;       Child Loop BB39_57 Depth 3
                                        ;     Child Loop BB39_64 Depth 2
                                        ;       Child Loop BB39_66 Depth 3
                                        ;     Child Loop BB39_73 Depth 2
                                        ;       Child Loop BB39_74 Depth 3
                                        ;     Child Loop BB39_81 Depth 2
                                        ;       Child Loop BB39_82 Depth 3
                                        ;     Child Loop BB39_89 Depth 2
                                        ;       Child Loop BB39_90 Depth 3
                                        ;     Child Loop BB39_96 Depth 2
                                        ;       Child Loop BB39_97 Depth 3
	s_mul_i32 s44, s11, s7
	s_mul_hi_u32 s45, s10, s7
	s_add_i32 s84, s45, s44
	s_mul_i32 s44, s15, s7
	s_mul_hi_u32 s45, s14, s7
	s_add_i32 s50, s45, s44
	s_mul_i32 s44, s59, s7
	s_mul_hi_u32 s54, s58, s7
	s_mul_i32 s85, s10, s7
	s_add_i32 s54, s54, s44
	s_add_u32 s68, s8, s85
	s_mul_i32 s51, s14, s7
	s_addc_u32 s69, s9, s84
	s_add_u32 s70, s12, s51
	s_mul_i32 s44, s7, s23
	s_mul_hi_u32 s45, s7, s22
	s_addc_u32 s71, s13, s50
	s_add_i32 s45, s45, s44
	s_mul_i32 s44, s7, s22
	s_lshl_b64 s[44:45], s[44:45], 4
	s_add_u32 s52, s6, s44
	s_mul_i32 s55, s58, s7
	s_addc_u32 s53, s25, s45
	s_andn2_b64 vcc, exec, s[16:17]
	s_mov_b64 s[72:73], -1
	s_cbranch_vccnz .LBB39_11
; %bb.5:                                ;   in Loop: Header=BB39_4 Depth=1
	s_and_saveexec_b64 s[72:73], s[0:1]
	s_cbranch_execz .LBB39_10
; %bb.6:                                ;   in Loop: Header=BB39_4 Depth=1
	s_lshl_b64 s[44:45], s[26:27], 4
	v_mov_b32_e32 v0, s54
	v_add_co_u32_e32 v6, vcc, s55, v18
	s_add_u32 s48, s52, s44
	v_addc_co_u32_e32 v7, vcc, v19, v0, vcc
	s_addc_u32 s49, s53, s45
	s_mov_b64 s[74:75], 0
	v_mov_b32_e32 v5, s53
	v_mov_b32_e32 v12, v4
	s_branch .LBB39_8
.LBB39_7:                               ;   in Loop: Header=BB39_8 Depth=2
	v_mov_b32_e32 v10, s49
	v_add_co_u32_e32 v8, vcc, s48, v8
	v_addc_co_u32_e32 v9, vcc, v10, v9, vcc
	v_add_u32_e32 v12, s4, v12
	v_cmp_le_i32_e32 vcc, s86, v12
	s_waitcnt vmcnt(0)
	global_store_dwordx4 v[8:9], v[0:3], off offset:-16
	s_or_b64 s[74:75], vcc, s[74:75]
	v_mov_b32_e32 v0, s61
	v_add_co_u32_e32 v6, vcc, s60, v6
	v_addc_co_u32_e32 v7, vcc, v7, v0, vcc
	s_andn2_b64 exec, exec, s[74:75]
	s_cbranch_execz .LBB39_10
.LBB39_8:                               ;   Parent Loop BB39_4 Depth=1
                                        ; =>  This Loop Header: Depth=2
                                        ;       Child Loop BB39_9 Depth 3
	v_mad_i64_i32 v[0:1], s[44:45], v12, s20, 0
	v_lshlrev_b64 v[8:9], 4, v[0:1]
	v_add_co_u32_e32 v0, vcc, s52, v8
	v_addc_co_u32_e32 v1, vcc, v5, v9, vcc
	global_load_dwordx4 v[0:3], v[0:1], off
	s_andn2_b64 vcc, exec, s[30:31]
	v_pk_mov_b32 v[10:11], v[6:7], v[6:7] op_sel:[0,1]
	s_mov_b64 s[76:77], s[68:69]
	s_mov_b64 s[78:79], s[70:71]
	s_mov_b32 s44, s56
	s_cbranch_vccnz .LBB39_7
.LBB39_9:                               ;   Parent Loop BB39_4 Depth=1
                                        ;     Parent Loop BB39_8 Depth=2
                                        ; =>    This Inner Loop Header: Depth=3
	global_load_dwordx2 v[46:47], v40, s[78:79]
	global_load_dwordx4 v[14:17], v[10:11], off offset:-8
	global_load_dwordx2 v[48:49], v40, s[76:77]
	s_add_i32 s44, s44, -1
	s_add_u32 s78, s78, 8
	s_addc_u32 s79, s79, 0
	s_add_u32 s76, s76, 8
	s_addc_u32 s77, s77, 0
	s_cmp_eq_u32 s44, 0
	s_waitcnt vmcnt(2)
	v_mul_f64 v[50:51], v[0:1], v[46:47]
	s_waitcnt vmcnt(1)
	v_mul_f64 v[42:43], v[46:47], v[14:15]
	v_mul_f64 v[44:45], v[46:47], v[16:17]
	s_waitcnt vmcnt(0)
	v_fmac_f64_e32 v[42:43], v[0:1], v[48:49]
	v_fmac_f64_e32 v[44:45], v[2:3], v[48:49]
	v_mul_f64 v[46:47], v[2:3], v[46:47]
	global_store_dwordx4 v[10:11], v[42:45], off offset:-24
	v_add_co_u32_e32 v10, vcc, 16, v10
	v_fma_f64 v[0:1], v[48:49], v[14:15], -v[50:51]
	v_fma_f64 v[2:3], v[48:49], v[16:17], -v[46:47]
	v_addc_co_u32_e32 v11, vcc, 0, v11, vcc
	s_cbranch_scc0 .LBB39_9
	s_branch .LBB39_7
.LBB39_10:                              ;   in Loop: Header=BB39_4 Depth=1
	s_or_b64 exec, exec, s[72:73]
	s_mov_b64 s[72:73], 0
.LBB39_11:                              ;   in Loop: Header=BB39_4 Depth=1
	s_andn2_b64 vcc, exec, s[72:73]
	s_cbranch_vccnz .LBB39_3
; %bb.12:                               ;   in Loop: Header=BB39_4 Depth=1
	s_add_u32 s72, s87, s85
	s_addc_u32 s73, s88, s84
	s_add_u32 s74, s89, s51
	s_addc_u32 s75, s90, s50
	s_andn2_b64 vcc, exec, s[28:29]
	s_mov_b64 s[76:77], -1
	s_cbranch_vccnz .LBB39_19
; %bb.13:                               ;   in Loop: Header=BB39_4 Depth=1
	s_and_saveexec_b64 s[76:77], s[0:1]
	s_cbranch_execz .LBB39_18
; %bb.14:                               ;   in Loop: Header=BB39_4 Depth=1
	s_lshl_b64 s[44:45], s[26:27], 4
	v_mov_b32_e32 v0, s54
	v_add_co_u32_e32 v6, vcc, s55, v20
	s_add_u32 s48, s52, s44
	v_addc_co_u32_e32 v7, vcc, v21, v0, vcc
	s_addc_u32 s49, s53, s45
	s_mov_b64 s[78:79], 0
	v_mov_b32_e32 v5, v4
	s_branch .LBB39_16
.LBB39_15:                              ;   in Loop: Header=BB39_16 Depth=2
	v_mov_b32_e32 v10, s53
	v_add_co_u32_e32 v8, vcc, s52, v8
	v_addc_co_u32_e32 v9, vcc, v10, v9, vcc
	v_add_u32_e32 v5, s4, v5
	v_cmp_le_i32_e32 vcc, s86, v5
	s_waitcnt vmcnt(0)
	global_store_dwordx4 v[8:9], v[0:3], off
	s_or_b64 s[78:79], vcc, s[78:79]
	v_mov_b32_e32 v0, s61
	v_add_co_u32_e32 v6, vcc, s60, v6
	v_addc_co_u32_e32 v7, vcc, v7, v0, vcc
	s_andn2_b64 exec, exec, s[78:79]
	s_cbranch_execz .LBB39_18
.LBB39_16:                              ;   Parent Loop BB39_4 Depth=1
                                        ; =>  This Loop Header: Depth=2
                                        ;       Child Loop BB39_17 Depth 3
	v_mad_i64_i32 v[0:1], s[44:45], v5, s20, 0
	v_lshlrev_b64 v[8:9], 4, v[0:1]
	v_mov_b32_e32 v1, s49
	v_add_co_u32_e32 v0, vcc, s48, v8
	v_addc_co_u32_e32 v1, vcc, v1, v9, vcc
	global_load_dwordx4 v[0:3], v[0:1], off offset:-16
	s_andn2_b64 vcc, exec, s[30:31]
	v_pk_mov_b32 v[10:11], v[6:7], v[6:7] op_sel:[0,1]
	s_mov_b64 s[80:81], s[74:75]
	s_mov_b64 s[82:83], s[72:73]
	s_mov_b32 s44, s56
	s_cbranch_vccnz .LBB39_15
.LBB39_17:                              ;   Parent Loop BB39_4 Depth=1
                                        ;     Parent Loop BB39_16 Depth=2
                                        ; =>    This Inner Loop Header: Depth=3
	global_load_dwordx4 v[12:15], v[10:11], off
	global_load_dwordx2 v[16:17], v40, s[80:81]
	global_load_dwordx2 v[42:43], v40, s[82:83]
	s_add_i32 s44, s44, -1
	s_add_u32 s82, s82, -8
	s_waitcnt vmcnt(3)
	v_pk_mov_b32 v[44:45], v[2:3], v[2:3] op_sel:[0,1]
	v_pk_mov_b32 v[46:47], v[0:1], v[0:1] op_sel:[0,1]
	s_addc_u32 s83, s83, -1
	s_add_u32 s80, s80, -8
	s_addc_u32 s81, s81, -1
	s_cmp_eq_u32 s44, 0
	s_waitcnt vmcnt(1)
	v_mul_f64 v[48:49], v[16:17], v[12:13]
	v_mul_f64 v[50:51], v[16:17], v[14:15]
	s_waitcnt vmcnt(0)
	v_mul_f64 v[0:1], v[42:43], v[12:13]
	v_mul_f64 v[2:3], v[42:43], v[14:15]
	v_fma_f64 v[12:13], v[46:47], v[42:43], -v[48:49]
	v_fma_f64 v[14:15], v[44:45], v[42:43], -v[50:51]
	global_store_dwordx4 v[10:11], v[12:15], off offset:16
	v_add_co_u32_e32 v10, vcc, -16, v10
	v_fmac_f64_e32 v[0:1], v[46:47], v[16:17]
	v_fmac_f64_e32 v[2:3], v[44:45], v[16:17]
	v_addc_co_u32_e32 v11, vcc, -1, v11, vcc
	s_cbranch_scc0 .LBB39_17
	s_branch .LBB39_15
.LBB39_18:                              ;   in Loop: Header=BB39_4 Depth=1
	s_or_b64 exec, exec, s[76:77]
	s_mov_b64 s[76:77], 0
.LBB39_19:                              ;   in Loop: Header=BB39_4 Depth=1
	s_andn2_b64 vcc, exec, s[76:77]
	s_cbranch_vccnz .LBB39_3
; %bb.20:                               ;   in Loop: Header=BB39_4 Depth=1
	s_andn2_b64 vcc, exec, s[34:35]
	s_mov_b64 s[76:77], -1
	s_cbranch_vccnz .LBB39_27
; %bb.21:                               ;   in Loop: Header=BB39_4 Depth=1
	s_and_saveexec_b64 s[76:77], s[0:1]
	s_cbranch_execz .LBB39_26
; %bb.22:                               ;   in Loop: Header=BB39_4 Depth=1
	v_mov_b32_e32 v0, s54
	v_add_co_u32_e32 v6, vcc, s55, v22
	v_addc_co_u32_e32 v7, vcc, v23, v0, vcc
	s_mov_b64 s[78:79], 0
	v_mov_b32_e32 v5, v4
	s_branch .LBB39_24
.LBB39_23:                              ;   in Loop: Header=BB39_24 Depth=2
	v_add_u32_e32 v5, s4, v5
	v_cmp_le_i32_e32 vcc, s86, v5
	s_waitcnt vmcnt(0)
	global_store_dwordx4 v[8:9], v[0:3], off
	s_or_b64 s[78:79], vcc, s[78:79]
	v_mov_b32_e32 v0, s61
	v_add_co_u32_e32 v6, vcc, s60, v6
	v_addc_co_u32_e32 v7, vcc, v7, v0, vcc
	s_andn2_b64 exec, exec, s[78:79]
	s_cbranch_execz .LBB39_26
.LBB39_24:                              ;   Parent Loop BB39_4 Depth=1
                                        ; =>  This Loop Header: Depth=2
                                        ;       Child Loop BB39_25 Depth 3
	v_mad_i64_i32 v[0:1], s[44:45], v5, s20, 0
	v_lshlrev_b64 v[0:1], 4, v[0:1]
	v_mov_b32_e32 v2, s53
	v_add_co_u32_e32 v8, vcc, s52, v0
	v_addc_co_u32_e32 v9, vcc, v2, v1, vcc
	global_load_dwordx4 v[0:3], v[8:9], off
	s_andn2_b64 vcc, exec, s[30:31]
	v_pk_mov_b32 v[10:11], v[6:7], v[6:7] op_sel:[0,1]
	s_mov_b32 s48, s56
	s_mov_b64 s[80:81], s[68:69]
	s_mov_b64 s[82:83], s[70:71]
	s_cbranch_vccnz .LBB39_23
.LBB39_25:                              ;   Parent Loop BB39_4 Depth=1
                                        ;     Parent Loop BB39_24 Depth=2
                                        ; =>    This Inner Loop Header: Depth=3
	global_load_dwordx2 v[16:17], v40, s[82:83]
	global_load_dwordx4 v[12:15], v[10:11], off
	global_load_dwordx2 v[42:43], v40, s[80:81]
	s_waitcnt vmcnt(3)
	v_pk_mov_b32 v[44:45], v[2:3], v[2:3] op_sel:[0,1]
	v_pk_mov_b32 v[46:47], v[0:1], v[0:1] op_sel:[0,1]
	s_add_u32 s82, s82, 8
	s_addc_u32 s83, s83, 0
	s_add_u32 s80, s80, 8
	s_addc_u32 s81, s81, 0
	s_add_i32 s48, s48, -1
	s_cmp_eq_u32 s48, 0
	s_waitcnt vmcnt(2)
	v_mul_f64 v[48:49], v[46:47], v[16:17]
	v_mul_f64 v[50:51], v[44:45], v[16:17]
	s_waitcnt vmcnt(1)
	v_mul_f64 v[0:1], v[16:17], v[12:13]
	v_mul_f64 v[2:3], v[16:17], v[14:15]
	s_waitcnt vmcnt(0)
	v_fma_f64 v[12:13], v[42:43], v[12:13], -v[48:49]
	v_fma_f64 v[14:15], v[42:43], v[14:15], -v[50:51]
	global_store_dwordx4 v[10:11], v[12:15], off
	v_add_co_u32_e32 v10, vcc, 16, v10
	v_fmac_f64_e32 v[0:1], v[46:47], v[42:43]
	v_fmac_f64_e32 v[2:3], v[44:45], v[42:43]
	v_addc_co_u32_e32 v11, vcc, 0, v11, vcc
	s_cbranch_scc0 .LBB39_25
	s_branch .LBB39_23
.LBB39_26:                              ;   in Loop: Header=BB39_4 Depth=1
	s_or_b64 exec, exec, s[76:77]
	s_mov_b64 s[76:77], 0
.LBB39_27:                              ;   in Loop: Header=BB39_4 Depth=1
	s_andn2_b64 vcc, exec, s[76:77]
	s_cbranch_vccnz .LBB39_3
; %bb.28:                               ;   in Loop: Header=BB39_4 Depth=1
	s_andn2_b64 vcc, exec, s[36:37]
	s_mov_b64 s[76:77], -1
	s_cbranch_vccnz .LBB39_35
; %bb.29:                               ;   in Loop: Header=BB39_4 Depth=1
	s_and_saveexec_b64 s[76:77], s[0:1]
	s_cbranch_execz .LBB39_34
; %bb.30:                               ;   in Loop: Header=BB39_4 Depth=1
	v_mov_b32_e32 v0, s54
	v_add_co_u32_e32 v6, vcc, s55, v26
	v_addc_co_u32_e32 v7, vcc, v27, v0, vcc
	s_mov_b64 s[78:79], 0
	v_mov_b32_e32 v5, v4
	s_branch .LBB39_32
.LBB39_31:                              ;   in Loop: Header=BB39_32 Depth=2
	v_add_u32_e32 v5, s4, v5
	v_cmp_le_i32_e32 vcc, s86, v5
	s_waitcnt vmcnt(0)
	global_store_dwordx4 v[8:9], v[0:3], off
	s_or_b64 s[78:79], vcc, s[78:79]
	v_mov_b32_e32 v0, s61
	v_add_co_u32_e32 v6, vcc, s60, v6
	v_addc_co_u32_e32 v7, vcc, v7, v0, vcc
	s_andn2_b64 exec, exec, s[78:79]
	s_cbranch_execz .LBB39_34
.LBB39_32:                              ;   Parent Loop BB39_4 Depth=1
                                        ; =>  This Loop Header: Depth=2
                                        ;       Child Loop BB39_33 Depth 3
	v_mad_i64_i32 v[0:1], s[44:45], v5, s20, 0
	v_lshlrev_b64 v[0:1], 4, v[0:1]
	v_mov_b32_e32 v2, s53
	v_add_co_u32_e32 v8, vcc, s52, v0
	v_addc_co_u32_e32 v9, vcc, v2, v1, vcc
	global_load_dwordx4 v[0:3], v[8:9], off
	s_andn2_b64 vcc, exec, s[30:31]
	v_pk_mov_b32 v[10:11], v[6:7], v[6:7] op_sel:[0,1]
	s_mov_b64 s[80:81], s[74:75]
	s_mov_b64 s[82:83], s[72:73]
	s_mov_b32 s44, s91
	s_cbranch_vccnz .LBB39_31
.LBB39_33:                              ;   Parent Loop BB39_4 Depth=1
                                        ;     Parent Loop BB39_32 Depth=2
                                        ; =>    This Inner Loop Header: Depth=3
	global_load_dwordx2 v[16:17], v40, s[80:81]
	global_load_dwordx4 v[12:15], v[10:11], off offset:-8
	global_load_dwordx2 v[42:43], v40, s[82:83]
	s_add_i32 s44, s44, -1
	s_waitcnt vmcnt(3)
	v_pk_mov_b32 v[44:45], v[2:3], v[2:3] op_sel:[0,1]
	v_pk_mov_b32 v[46:47], v[0:1], v[0:1] op_sel:[0,1]
	s_add_u32 s82, s82, -8
	s_addc_u32 s83, s83, -1
	s_add_u32 s80, s80, -8
	s_addc_u32 s81, s81, -1
	s_cmp_lt_u32 s44, 3
	s_waitcnt vmcnt(2)
	v_mul_f64 v[48:49], v[46:47], v[16:17]
	v_mul_f64 v[50:51], v[44:45], v[16:17]
	s_waitcnt vmcnt(1)
	v_mul_f64 v[0:1], v[16:17], v[12:13]
	v_mul_f64 v[2:3], v[16:17], v[14:15]
	s_waitcnt vmcnt(0)
	v_fma_f64 v[12:13], v[42:43], v[12:13], -v[48:49]
	v_fma_f64 v[14:15], v[42:43], v[14:15], -v[50:51]
	global_store_dwordx4 v[10:11], v[12:15], off offset:-8
	v_add_co_u32_e32 v10, vcc, -16, v10
	v_fmac_f64_e32 v[0:1], v[46:47], v[42:43]
	v_fmac_f64_e32 v[2:3], v[44:45], v[42:43]
	v_addc_co_u32_e32 v11, vcc, -1, v11, vcc
	s_cbranch_scc0 .LBB39_33
	s_branch .LBB39_31
.LBB39_34:                              ;   in Loop: Header=BB39_4 Depth=1
	s_or_b64 exec, exec, s[76:77]
	s_mov_b64 s[76:77], 0
.LBB39_35:                              ;   in Loop: Header=BB39_4 Depth=1
	s_andn2_b64 vcc, exec, s[76:77]
	s_cbranch_vccnz .LBB39_3
; %bb.36:                               ;   in Loop: Header=BB39_4 Depth=1
	s_andn2_b64 vcc, exec, s[38:39]
	s_mov_b64 s[76:77], -1
	s_cbranch_vccnz .LBB39_43
; %bb.37:                               ;   in Loop: Header=BB39_4 Depth=1
	s_and_saveexec_b64 s[76:77], s[0:1]
	s_cbranch_execz .LBB39_42
; %bb.38:                               ;   in Loop: Header=BB39_4 Depth=1
	s_lshl_b64 s[44:45], s[26:27], 4
	v_mov_b32_e32 v0, s54
	v_add_co_u32_e32 v6, vcc, s55, v24
	s_add_u32 s48, s52, s44
	v_addc_co_u32_e32 v7, vcc, v25, v0, vcc
	s_addc_u32 s49, s53, s45
	s_mov_b64 s[78:79], 0
	v_mov_b32_e32 v5, v4
	s_branch .LBB39_40
.LBB39_39:                              ;   in Loop: Header=BB39_40 Depth=2
	v_add_u32_e32 v5, s4, v5
	v_cmp_le_i32_e32 vcc, s86, v5
	s_waitcnt vmcnt(0)
	global_store_dwordx4 v[8:9], v[0:3], off offset:-16
	s_or_b64 s[78:79], vcc, s[78:79]
	v_mov_b32_e32 v0, s61
	v_add_co_u32_e32 v6, vcc, s60, v6
	v_addc_co_u32_e32 v7, vcc, v7, v0, vcc
	s_andn2_b64 exec, exec, s[78:79]
	s_cbranch_execz .LBB39_42
.LBB39_40:                              ;   Parent Loop BB39_4 Depth=1
                                        ; =>  This Loop Header: Depth=2
                                        ;       Child Loop BB39_41 Depth 3
	v_mad_i64_i32 v[0:1], s[44:45], v5, s20, 0
	v_lshlrev_b64 v[0:1], 4, v[0:1]
	v_mov_b32_e32 v2, s49
	v_add_co_u32_e32 v8, vcc, s48, v0
	v_addc_co_u32_e32 v9, vcc, v2, v1, vcc
	global_load_dwordx4 v[0:3], v[8:9], off offset:-16
	s_andn2_b64 vcc, exec, s[30:31]
	v_pk_mov_b32 v[10:11], v[6:7], v[6:7] op_sel:[0,1]
	s_mov_b64 s[80:81], s[70:71]
	s_mov_b64 s[82:83], s[68:69]
	s_mov_b32 s44, s56
	s_cbranch_vccnz .LBB39_39
.LBB39_41:                              ;   Parent Loop BB39_4 Depth=1
                                        ;     Parent Loop BB39_40 Depth=2
                                        ; =>    This Inner Loop Header: Depth=3
	global_load_dwordx4 v[12:15], v[10:11], off offset:-8
	global_load_dwordx2 v[16:17], v40, s[82:83]
	global_load_dwordx2 v[46:47], v40, s[80:81]
	s_add_i32 s44, s44, -1
	s_add_u32 s82, s82, 8
	s_addc_u32 s83, s83, 0
	s_add_u32 s80, s80, 8
	s_addc_u32 s81, s81, 0
	s_cmp_eq_u32 s44, 0
	s_waitcnt vmcnt(1)
	v_mul_f64 v[42:43], v[16:17], v[12:13]
	v_mul_f64 v[44:45], v[16:17], v[14:15]
	s_waitcnt vmcnt(0)
	v_fmac_f64_e32 v[42:43], v[0:1], v[46:47]
	v_fmac_f64_e32 v[44:45], v[2:3], v[46:47]
	v_mul_f64 v[12:13], v[46:47], v[12:13]
	v_mul_f64 v[14:15], v[46:47], v[14:15]
	global_store_dwordx4 v[10:11], v[42:45], off offset:-8
	v_add_co_u32_e32 v10, vcc, 16, v10
	v_fma_f64 v[0:1], v[0:1], v[16:17], -v[12:13]
	v_fma_f64 v[2:3], v[2:3], v[16:17], -v[14:15]
	v_addc_co_u32_e32 v11, vcc, 0, v11, vcc
	s_cbranch_scc0 .LBB39_41
	s_branch .LBB39_39
.LBB39_42:                              ;   in Loop: Header=BB39_4 Depth=1
	s_or_b64 exec, exec, s[76:77]
	s_mov_b64 s[76:77], 0
.LBB39_43:                              ;   in Loop: Header=BB39_4 Depth=1
	s_andn2_b64 vcc, exec, s[76:77]
	s_cbranch_vccnz .LBB39_3
; %bb.44:                               ;   in Loop: Header=BB39_4 Depth=1
	s_andn2_b64 vcc, exec, s[40:41]
	s_mov_b64 s[76:77], -1
	s_cbranch_vccnz .LBB39_51
; %bb.45:                               ;   in Loop: Header=BB39_4 Depth=1
	s_and_saveexec_b64 s[76:77], s[0:1]
	s_cbranch_execz .LBB39_50
; %bb.46:                               ;   in Loop: Header=BB39_4 Depth=1
	s_lshl_b64 s[44:45], s[26:27], 4
	v_mov_b32_e32 v0, s54
	v_add_co_u32_e32 v6, vcc, s55, v28
	s_add_u32 s48, s52, s44
	v_addc_co_u32_e32 v7, vcc, v29, v0, vcc
	s_addc_u32 s49, s53, s45
	s_mov_b64 s[78:79], 0
	v_mov_b32_e32 v5, v4
	s_branch .LBB39_48
.LBB39_47:                              ;   in Loop: Header=BB39_48 Depth=2
	v_add_u32_e32 v5, s4, v5
	v_cmp_le_i32_e32 vcc, s86, v5
	s_waitcnt vmcnt(0)
	global_store_dwordx4 v[8:9], v[0:3], off offset:-16
	s_or_b64 s[78:79], vcc, s[78:79]
	v_mov_b32_e32 v0, s61
	v_add_co_u32_e32 v6, vcc, s60, v6
	v_addc_co_u32_e32 v7, vcc, v7, v0, vcc
	s_andn2_b64 exec, exec, s[78:79]
	s_cbranch_execz .LBB39_50
.LBB39_48:                              ;   Parent Loop BB39_4 Depth=1
                                        ; =>  This Loop Header: Depth=2
                                        ;       Child Loop BB39_49 Depth 3
	v_mad_i64_i32 v[0:1], s[44:45], v5, s20, 0
	v_lshlrev_b64 v[0:1], 4, v[0:1]
	v_mov_b32_e32 v2, s49
	v_add_co_u32_e32 v8, vcc, s48, v0
	v_addc_co_u32_e32 v9, vcc, v2, v1, vcc
	global_load_dwordx4 v[0:3], v[8:9], off offset:-16
	s_andn2_b64 vcc, exec, s[30:31]
	v_pk_mov_b32 v[10:11], v[6:7], v[6:7] op_sel:[0,1]
	s_mov_b64 s[80:81], s[74:75]
	s_mov_b64 s[82:83], s[72:73]
	s_mov_b32 s44, s56
	s_cbranch_vccnz .LBB39_47
.LBB39_49:                              ;   Parent Loop BB39_4 Depth=1
                                        ;     Parent Loop BB39_48 Depth=2
                                        ; =>    This Inner Loop Header: Depth=3
	global_load_dwordx4 v[12:15], v[10:11], off offset:-8
	global_load_dwordx2 v[16:17], v40, s[82:83]
	global_load_dwordx2 v[46:47], v40, s[80:81]
	s_add_i32 s44, s44, -1
	s_add_u32 s82, s82, -8
	s_addc_u32 s83, s83, -1
	s_add_u32 s80, s80, -8
	s_addc_u32 s81, s81, -1
	s_cmp_eq_u32 s44, 0
	s_waitcnt vmcnt(1)
	v_mul_f64 v[42:43], v[16:17], v[12:13]
	v_mul_f64 v[44:45], v[16:17], v[14:15]
	s_waitcnt vmcnt(0)
	v_fmac_f64_e32 v[42:43], v[0:1], v[46:47]
	v_fmac_f64_e32 v[44:45], v[2:3], v[46:47]
	v_mul_f64 v[12:13], v[46:47], v[12:13]
	v_mul_f64 v[14:15], v[46:47], v[14:15]
	global_store_dwordx4 v[10:11], v[42:45], off offset:-8
	v_add_co_u32_e32 v10, vcc, -16, v10
	v_fma_f64 v[0:1], v[0:1], v[16:17], -v[12:13]
	v_fma_f64 v[2:3], v[2:3], v[16:17], -v[14:15]
	v_addc_co_u32_e32 v11, vcc, -1, v11, vcc
	s_cbranch_scc0 .LBB39_49
	s_branch .LBB39_47
.LBB39_50:                              ;   in Loop: Header=BB39_4 Depth=1
	s_or_b64 exec, exec, s[76:77]
	s_mov_b64 s[76:77], 0
.LBB39_51:                              ;   in Loop: Header=BB39_4 Depth=1
	s_andn2_b64 vcc, exec, s[76:77]
	s_cbranch_vccnz .LBB39_3
; %bb.52:                               ;   in Loop: Header=BB39_4 Depth=1
	v_mov_b32_e32 v0, s54
	v_add_co_u32_e32 v6, vcc, s55, v30
	v_addc_co_u32_e32 v7, vcc, v31, v0, vcc
	s_andn2_b64 vcc, exec, s[42:43]
	s_mov_b64 s[72:73], -1
	s_cbranch_vccnz .LBB39_59
; %bb.53:                               ;   in Loop: Header=BB39_4 Depth=1
	s_and_saveexec_b64 s[72:73], s[2:3]
	s_cbranch_execz .LBB39_58
; %bb.54:                               ;   in Loop: Header=BB39_4 Depth=1
	s_lshl_b64 s[44:45], s[66:67], 4
	s_add_u32 s48, s52, s44
	s_addc_u32 s49, s53, s45
	s_mov_b64 s[74:75], 0
	v_pk_mov_b32 v[8:9], v[6:7], v[6:7] op_sel:[0,1]
	v_mov_b32_e32 v10, v4
	s_branch .LBB39_56
.LBB39_55:                              ;   in Loop: Header=BB39_56 Depth=2
	v_mov_b32_e32 v5, s49
	v_add_co_u32_e32 v12, vcc, s48, v12
	v_addc_co_u32_e32 v13, vcc, v5, v13, vcc
	v_add_u32_e32 v10, s4, v10
	v_cmp_le_i32_e32 vcc, s19, v10
	s_waitcnt vmcnt(0)
	global_store_dwordx4 v[12:13], v[0:3], off
	s_or_b64 s[74:75], vcc, s[74:75]
	v_mov_b32_e32 v0, s63
	v_add_co_u32_e32 v8, vcc, s62, v8
	v_addc_co_u32_e32 v9, vcc, v9, v0, vcc
	s_andn2_b64 exec, exec, s[74:75]
	s_cbranch_execz .LBB39_58
.LBB39_56:                              ;   Parent Loop BB39_4 Depth=1
                                        ; =>  This Loop Header: Depth=2
                                        ;       Child Loop BB39_57 Depth 3
	v_ashrrev_i32_e32 v11, 31, v10
	v_lshlrev_b64 v[12:13], 4, v[10:11]
	v_mov_b32_e32 v1, s53
	v_add_co_u32_e32 v0, vcc, s52, v12
	v_addc_co_u32_e32 v1, vcc, v1, v13, vcc
	global_load_dwordx4 v[0:3], v[0:1], off
	s_andn2_b64 vcc, exec, s[46:47]
	s_mov_b64 s[76:77], s[70:71]
	s_mov_b64 s[78:79], s[68:69]
	v_pk_mov_b32 v[14:15], v[8:9], v[8:9] op_sel:[0,1]
	s_mov_b32 s44, s18
	s_cbranch_vccnz .LBB39_55
.LBB39_57:                              ;   Parent Loop BB39_4 Depth=1
                                        ;     Parent Loop BB39_56 Depth=2
                                        ; =>    This Inner Loop Header: Depth=3
	v_mov_b32_e32 v5, s65
	v_add_co_u32_e32 v50, vcc, s64, v14
	global_load_dwordx2 v[16:17], v40, s[76:77]
	v_addc_co_u32_e32 v51, vcc, v15, v5, vcc
	global_load_dwordx4 v[42:45], v[50:51], off offset:-8
	global_load_dwordx2 v[52:53], v40, s[78:79]
	s_add_i32 s44, s44, -1
	s_add_u32 s78, s78, 8
	s_addc_u32 s79, s79, 0
	s_add_u32 s76, s76, 8
	s_addc_u32 s77, s77, 0
	s_cmp_eq_u32 s44, 0
	s_waitcnt vmcnt(2)
	v_mul_f64 v[54:55], v[0:1], v[16:17]
	v_mul_f64 v[56:57], v[2:3], v[16:17]
	s_waitcnt vmcnt(1)
	v_mul_f64 v[46:47], v[16:17], v[42:43]
	v_mul_f64 v[48:49], v[16:17], v[44:45]
	s_waitcnt vmcnt(0)
	v_fmac_f64_e32 v[46:47], v[0:1], v[52:53]
	v_fmac_f64_e32 v[48:49], v[2:3], v[52:53]
	v_fma_f64 v[0:1], v[52:53], v[42:43], -v[54:55]
	v_fma_f64 v[2:3], v[52:53], v[44:45], -v[56:57]
	global_store_dwordx4 v[14:15], v[46:49], off offset:-8
	v_pk_mov_b32 v[14:15], v[50:51], v[50:51] op_sel:[0,1]
	s_cbranch_scc0 .LBB39_57
	s_branch .LBB39_55
.LBB39_58:                              ;   in Loop: Header=BB39_4 Depth=1
	s_or_b64 exec, exec, s[72:73]
	s_mov_b64 s[72:73], 0
.LBB39_59:                              ;   in Loop: Header=BB39_4 Depth=1
	s_andn2_b64 vcc, exec, s[72:73]
	s_cbranch_vccnz .LBB39_3
; %bb.60:                               ;   in Loop: Header=BB39_4 Depth=1
	s_add_u32 s72, s5, s85
	s_addc_u32 s73, s21, s84
	v_mov_b32_e32 v0, s54
	v_add_co_u32_e32 v8, vcc, s55, v34
	v_readlane_b32 s44, v41, 0
	s_add_u32 s74, s57, s51
	v_addc_co_u32_e32 v9, vcc, v35, v0, vcc
	v_readlane_b32 s45, v41, 1
	s_addc_u32 s75, s92, s50
	s_andn2_b64 vcc, exec, s[44:45]
	s_mov_b64 s[76:77], -1
	s_cbranch_vccnz .LBB39_68
; %bb.61:                               ;   in Loop: Header=BB39_4 Depth=1
	s_and_saveexec_b64 s[76:77], s[2:3]
	s_cbranch_execz .LBB39_67
; %bb.62:                               ;   in Loop: Header=BB39_4 Depth=1
	s_lshl_b64 s[44:45], s[66:67], 4
	v_mov_b32_e32 v0, s54
	v_add_co_u32_e32 v10, vcc, s55, v32
	s_add_u32 s50, s52, s44
	v_addc_co_u32_e32 v5, vcc, v33, v0, vcc
	s_addc_u32 s51, s53, s45
	s_mov_b64 s[78:79], 0
	v_pk_mov_b32 v[12:13], v[8:9], v[8:9] op_sel:[0,1]
	v_mov_b32_e32 v14, v4
	s_branch .LBB39_64
.LBB39_63:                              ;   in Loop: Header=BB39_64 Depth=2
	v_mov_b32_e32 v11, s53
	v_add_co_u32_e32 v16, vcc, s52, v16
	v_addc_co_u32_e32 v17, vcc, v11, v17, vcc
	s_waitcnt vmcnt(0)
	global_store_dwordx4 v[16:17], v[0:3], off
	v_add_co_u32_e32 v10, vcc, s62, v10
	v_mov_b32_e32 v0, s63
	v_add_u32_e32 v14, s4, v14
	v_addc_co_u32_e32 v5, vcc, v5, v0, vcc
	v_cmp_le_i32_e32 vcc, s19, v14
	s_or_b64 s[78:79], vcc, s[78:79]
	v_add_co_u32_e32 v12, vcc, s62, v12
	v_addc_co_u32_e32 v13, vcc, v13, v0, vcc
	s_andn2_b64 exec, exec, s[78:79]
	s_cbranch_execz .LBB39_67
.LBB39_64:                              ;   Parent Loop BB39_4 Depth=1
                                        ; =>  This Loop Header: Depth=2
                                        ;       Child Loop BB39_66 Depth 3
	v_ashrrev_i32_e32 v15, 31, v14
	v_lshlrev_b64 v[16:17], 4, v[14:15]
	v_mov_b32_e32 v1, s51
	v_add_co_u32_e32 v0, vcc, s50, v16
	v_addc_co_u32_e32 v1, vcc, v1, v17, vcc
	global_load_dwordx4 v[0:3], v[0:1], off
	s_andn2_b64 vcc, exec, s[46:47]
	s_cbranch_vccnz .LBB39_63
; %bb.65:                               ;   in Loop: Header=BB39_64 Depth=2
	s_mov_b64 s[80:81], 0
	s_mov_b64 s[82:83], s[74:75]
	;; [unrolled: 1-line block ×3, first 2 shown]
	s_mov_b32 s48, s18
.LBB39_66:                              ;   Parent Loop BB39_4 Depth=1
                                        ;     Parent Loop BB39_64 Depth=2
                                        ; =>    This Inner Loop Header: Depth=3
	v_mov_b32_e32 v11, s81
	v_add_co_u32_e32 v42, vcc, s80, v10
	v_addc_co_u32_e32 v43, vcc, v5, v11, vcc
	global_load_dwordx2 v[46:47], v40, s[84:85]
	global_load_dwordx2 v[48:49], v40, s[82:83]
	s_add_i32 s48, s48, -1
	global_load_dwordx4 v[42:45], v[42:43], off
	v_add_co_u32_e32 v54, vcc, s80, v12
	s_sub_u32 s80, s80, s64
	s_subb_u32 s81, s81, s65
	s_add_u32 s84, s84, -8
	s_addc_u32 s85, s85, -1
	s_add_u32 s82, s82, -8
	s_waitcnt vmcnt(3)
	v_pk_mov_b32 v[50:51], v[2:3], v[2:3] op_sel:[0,1]
	v_pk_mov_b32 v[52:53], v[0:1], v[0:1] op_sel:[0,1]
	s_addc_u32 s83, s83, -1
	v_addc_co_u32_e32 v55, vcc, v13, v11, vcc
	s_cmp_eq_u32 s48, 0
	s_waitcnt vmcnt(0)
	v_mul_f64 v[56:57], v[48:49], v[42:43]
	v_mul_f64 v[58:59], v[48:49], v[44:45]
	;; [unrolled: 1-line block ×4, first 2 shown]
	v_fma_f64 v[42:43], v[52:53], v[46:47], -v[56:57]
	v_fma_f64 v[44:45], v[50:51], v[46:47], -v[58:59]
	v_fmac_f64_e32 v[0:1], v[52:53], v[48:49]
	v_fmac_f64_e32 v[2:3], v[50:51], v[48:49]
	global_store_dwordx4 v[54:55], v[42:45], off offset:-8
	s_cbranch_scc0 .LBB39_66
	s_branch .LBB39_63
.LBB39_67:                              ;   in Loop: Header=BB39_4 Depth=1
	s_or_b64 exec, exec, s[76:77]
	s_mov_b64 s[76:77], 0
.LBB39_68:                              ;   in Loop: Header=BB39_4 Depth=1
	s_andn2_b64 vcc, exec, s[76:77]
	s_cbranch_vccnz .LBB39_3
; %bb.69:                               ;   in Loop: Header=BB39_4 Depth=1
	v_readlane_b32 s44, v41, 2
	v_readlane_b32 s45, v41, 3
	s_andn2_b64 vcc, exec, s[44:45]
	s_mov_b64 s[76:77], -1
	s_cbranch_vccnz .LBB39_76
; %bb.70:                               ;   in Loop: Header=BB39_4 Depth=1
	s_and_saveexec_b64 s[76:77], s[2:3]
	s_cbranch_execz .LBB39_75
; %bb.71:                               ;   in Loop: Header=BB39_4 Depth=1
	v_mov_b32_e32 v0, s54
	v_add_co_u32_e32 v10, vcc, s55, v36
	v_addc_co_u32_e32 v11, vcc, v37, v0, vcc
	s_mov_b64 s[78:79], 0
	v_mov_b32_e32 v12, v4
	s_branch .LBB39_73
.LBB39_72:                              ;   in Loop: Header=BB39_73 Depth=2
	v_add_u32_e32 v12, s4, v12
	v_cmp_le_i32_e32 vcc, s19, v12
	s_waitcnt vmcnt(0)
	global_store_dwordx4 v[14:15], v[0:3], off
	s_or_b64 s[78:79], vcc, s[78:79]
	v_mov_b32_e32 v0, s63
	v_add_co_u32_e32 v10, vcc, s62, v10
	v_addc_co_u32_e32 v11, vcc, v11, v0, vcc
	s_andn2_b64 exec, exec, s[78:79]
	s_cbranch_execz .LBB39_75
.LBB39_73:                              ;   Parent Loop BB39_4 Depth=1
                                        ; =>  This Loop Header: Depth=2
                                        ;       Child Loop BB39_74 Depth 3
	v_ashrrev_i32_e32 v13, 31, v12
	v_lshlrev_b64 v[0:1], 4, v[12:13]
	v_mov_b32_e32 v2, s53
	v_add_co_u32_e32 v14, vcc, s52, v0
	v_addc_co_u32_e32 v15, vcc, v2, v1, vcc
	global_load_dwordx4 v[0:3], v[14:15], off
	s_andn2_b64 vcc, exec, s[46:47]
	v_pk_mov_b32 v[16:17], v[10:11], v[10:11] op_sel:[0,1]
	s_mov_b32 s48, s18
	s_mov_b64 s[80:81], s[68:69]
	s_mov_b64 s[82:83], s[70:71]
	s_cbranch_vccnz .LBB39_72
.LBB39_74:                              ;   Parent Loop BB39_4 Depth=1
                                        ;     Parent Loop BB39_73 Depth=2
                                        ; =>    This Inner Loop Header: Depth=3
	global_load_dwordx2 v[46:47], v40, s[82:83]
	global_load_dwordx4 v[42:45], v[16:17], off offset:-8
	global_load_dwordx2 v[48:49], v40, s[80:81]
	s_waitcnt vmcnt(3)
	v_pk_mov_b32 v[50:51], v[2:3], v[2:3] op_sel:[0,1]
	v_pk_mov_b32 v[52:53], v[0:1], v[0:1] op_sel:[0,1]
	s_add_u32 s82, s82, 8
	s_addc_u32 s83, s83, 0
	s_add_u32 s80, s80, 8
	v_mov_b32_e32 v5, s65
	s_addc_u32 s81, s81, 0
	s_add_i32 s48, s48, -1
	s_cmp_eq_u32 s48, 0
	s_waitcnt vmcnt(2)
	v_mul_f64 v[54:55], v[52:53], v[46:47]
	v_mul_f64 v[56:57], v[50:51], v[46:47]
	s_waitcnt vmcnt(1)
	v_mul_f64 v[0:1], v[46:47], v[42:43]
	v_mul_f64 v[2:3], v[46:47], v[44:45]
	s_waitcnt vmcnt(0)
	v_fma_f64 v[42:43], v[48:49], v[42:43], -v[54:55]
	v_fma_f64 v[44:45], v[48:49], v[44:45], -v[56:57]
	global_store_dwordx4 v[16:17], v[42:45], off offset:-8
	v_add_co_u32_e32 v16, vcc, s64, v16
	v_fmac_f64_e32 v[0:1], v[52:53], v[48:49]
	v_fmac_f64_e32 v[2:3], v[50:51], v[48:49]
	v_addc_co_u32_e32 v17, vcc, v17, v5, vcc
	s_cbranch_scc0 .LBB39_74
	s_branch .LBB39_72
.LBB39_75:                              ;   in Loop: Header=BB39_4 Depth=1
	s_or_b64 exec, exec, s[76:77]
	s_mov_b64 s[76:77], 0
.LBB39_76:                              ;   in Loop: Header=BB39_4 Depth=1
	s_andn2_b64 vcc, exec, s[76:77]
	s_cbranch_vccnz .LBB39_3
; %bb.77:                               ;   in Loop: Header=BB39_4 Depth=1
	v_readlane_b32 s44, v41, 4
	v_readlane_b32 s45, v41, 5
	s_andn2_b64 vcc, exec, s[44:45]
	s_mov_b64 s[76:77], -1
	s_cbranch_vccnz .LBB39_84
; %bb.78:                               ;   in Loop: Header=BB39_4 Depth=1
	s_and_saveexec_b64 s[76:77], s[2:3]
	s_cbranch_execz .LBB39_83
; %bb.79:                               ;   in Loop: Header=BB39_4 Depth=1
	s_mov_b64 s[78:79], 0
	v_mov_b32_e32 v10, v4
	s_branch .LBB39_81
.LBB39_80:                              ;   in Loop: Header=BB39_81 Depth=2
	v_add_u32_e32 v10, s4, v10
	v_cmp_le_i32_e32 vcc, s19, v10
	s_waitcnt vmcnt(0)
	global_store_dwordx4 v[12:13], v[0:3], off
	s_or_b64 s[78:79], vcc, s[78:79]
	v_mov_b32_e32 v0, s63
	v_add_co_u32_e32 v8, vcc, s62, v8
	v_addc_co_u32_e32 v9, vcc, v9, v0, vcc
	s_andn2_b64 exec, exec, s[78:79]
	s_cbranch_execz .LBB39_83
.LBB39_81:                              ;   Parent Loop BB39_4 Depth=1
                                        ; =>  This Loop Header: Depth=2
                                        ;       Child Loop BB39_82 Depth 3
	v_ashrrev_i32_e32 v11, 31, v10
	v_lshlrev_b64 v[0:1], 4, v[10:11]
	v_mov_b32_e32 v2, s53
	v_add_co_u32_e32 v12, vcc, s52, v0
	v_addc_co_u32_e32 v13, vcc, v2, v1, vcc
	global_load_dwordx4 v[0:3], v[12:13], off
	s_andn2_b64 vcc, exec, s[46:47]
	v_pk_mov_b32 v[14:15], v[8:9], v[8:9] op_sel:[0,1]
	s_mov_b64 s[80:81], s[74:75]
	s_mov_b64 s[82:83], s[72:73]
	s_mov_b32 s48, s93
	s_cbranch_vccnz .LBB39_80
.LBB39_82:                              ;   Parent Loop BB39_4 Depth=1
                                        ;     Parent Loop BB39_81 Depth=2
                                        ; =>    This Inner Loop Header: Depth=3
	global_load_dwordx2 v[16:17], v40, s[80:81]
	global_load_dwordx4 v[42:45], v[14:15], off offset:-8
	global_load_dwordx2 v[46:47], v40, s[82:83]
	s_add_i32 s48, s48, -1
	s_waitcnt vmcnt(3)
	v_pk_mov_b32 v[48:49], v[2:3], v[2:3] op_sel:[0,1]
	v_pk_mov_b32 v[50:51], v[0:1], v[0:1] op_sel:[0,1]
	s_add_u32 s82, s82, -8
	s_addc_u32 s83, s83, -1
	s_add_u32 s80, s80, -8
	v_mov_b32_e32 v5, s95
	s_addc_u32 s81, s81, -1
	s_cmp_lt_u32 s48, 3
	s_waitcnt vmcnt(2)
	v_mul_f64 v[52:53], v[50:51], v[16:17]
	v_mul_f64 v[54:55], v[48:49], v[16:17]
	s_waitcnt vmcnt(1)
	v_mul_f64 v[0:1], v[16:17], v[42:43]
	v_mul_f64 v[2:3], v[16:17], v[44:45]
	s_waitcnt vmcnt(0)
	v_fma_f64 v[42:43], v[46:47], v[42:43], -v[52:53]
	v_fma_f64 v[44:45], v[46:47], v[44:45], -v[54:55]
	global_store_dwordx4 v[14:15], v[42:45], off offset:-8
	v_add_co_u32_e32 v14, vcc, s94, v14
	v_fmac_f64_e32 v[0:1], v[50:51], v[46:47]
	v_fmac_f64_e32 v[2:3], v[48:49], v[46:47]
	v_addc_co_u32_e32 v15, vcc, v15, v5, vcc
	s_cbranch_scc0 .LBB39_82
	s_branch .LBB39_80
.LBB39_83:                              ;   in Loop: Header=BB39_4 Depth=1
	s_or_b64 exec, exec, s[76:77]
	s_mov_b64 s[76:77], 0
.LBB39_84:                              ;   in Loop: Header=BB39_4 Depth=1
	s_andn2_b64 vcc, exec, s[76:77]
	s_cbranch_vccnz .LBB39_3
; %bb.85:                               ;   in Loop: Header=BB39_4 Depth=1
	v_readlane_b32 s44, v41, 6
	v_readlane_b32 s45, v41, 7
	s_andn2_b64 vcc, exec, s[44:45]
	s_mov_b64 s[76:77], -1
	s_cbranch_vccnz .LBB39_92
; %bb.86:                               ;   in Loop: Header=BB39_4 Depth=1
	s_and_saveexec_b64 s[76:77], s[2:3]
	s_cbranch_execz .LBB39_91
; %bb.87:                               ;   in Loop: Header=BB39_4 Depth=1
	s_lshl_b64 s[44:45], s[66:67], 4
	s_add_u32 s48, s52, s44
	s_addc_u32 s49, s53, s45
	s_mov_b64 s[78:79], 0
	v_mov_b32_e32 v8, v4
	s_branch .LBB39_89
.LBB39_88:                              ;   in Loop: Header=BB39_89 Depth=2
	v_add_u32_e32 v8, s4, v8
	v_cmp_le_i32_e32 vcc, s19, v8
	s_waitcnt vmcnt(0)
	global_store_dwordx4 v[10:11], v[0:3], off
	s_or_b64 s[78:79], vcc, s[78:79]
	v_mov_b32_e32 v0, s63
	v_add_co_u32_e32 v6, vcc, s62, v6
	v_addc_co_u32_e32 v7, vcc, v7, v0, vcc
	s_andn2_b64 exec, exec, s[78:79]
	s_cbranch_execz .LBB39_91
.LBB39_89:                              ;   Parent Loop BB39_4 Depth=1
                                        ; =>  This Loop Header: Depth=2
                                        ;       Child Loop BB39_90 Depth 3
	v_ashrrev_i32_e32 v9, 31, v8
	v_lshlrev_b64 v[0:1], 4, v[8:9]
	v_mov_b32_e32 v2, s49
	v_add_co_u32_e32 v10, vcc, s48, v0
	v_addc_co_u32_e32 v11, vcc, v2, v1, vcc
	global_load_dwordx4 v[0:3], v[10:11], off
	s_andn2_b64 vcc, exec, s[46:47]
	v_pk_mov_b32 v[12:13], v[6:7], v[6:7] op_sel:[0,1]
	s_mov_b64 s[80:81], s[70:71]
	s_mov_b64 s[82:83], s[68:69]
	s_mov_b32 s50, s18
	s_cbranch_vccnz .LBB39_88
.LBB39_90:                              ;   Parent Loop BB39_4 Depth=1
                                        ;     Parent Loop BB39_89 Depth=2
                                        ; =>    This Inner Loop Header: Depth=3
	global_load_dwordx4 v[14:17], v[12:13], off offset:-8
	global_load_dwordx2 v[46:47], v40, s[82:83]
	global_load_dwordx2 v[48:49], v40, s[80:81]
	s_add_i32 s50, s50, -1
	s_add_u32 s82, s82, 8
	s_addc_u32 s83, s83, 0
	s_add_u32 s80, s80, 8
	v_mov_b32_e32 v5, s65
	s_addc_u32 s81, s81, 0
	s_cmp_eq_u32 s50, 0
	s_waitcnt vmcnt(1)
	v_mul_f64 v[42:43], v[46:47], v[14:15]
	v_mul_f64 v[44:45], v[46:47], v[16:17]
	s_waitcnt vmcnt(0)
	v_fmac_f64_e32 v[42:43], v[0:1], v[48:49]
	v_fmac_f64_e32 v[44:45], v[2:3], v[48:49]
	v_mul_f64 v[14:15], v[48:49], v[14:15]
	v_mul_f64 v[16:17], v[48:49], v[16:17]
	global_store_dwordx4 v[12:13], v[42:45], off offset:-8
	v_add_co_u32_e32 v12, vcc, s64, v12
	v_fma_f64 v[0:1], v[0:1], v[46:47], -v[14:15]
	v_fma_f64 v[2:3], v[2:3], v[46:47], -v[16:17]
	v_addc_co_u32_e32 v13, vcc, v13, v5, vcc
	s_cbranch_scc0 .LBB39_90
	s_branch .LBB39_88
.LBB39_91:                              ;   in Loop: Header=BB39_4 Depth=1
	s_or_b64 exec, exec, s[76:77]
	s_mov_b64 s[76:77], 0
.LBB39_92:                              ;   in Loop: Header=BB39_4 Depth=1
	s_andn2_b64 vcc, exec, s[76:77]
	s_cbranch_vccnz .LBB39_3
; %bb.93:                               ;   in Loop: Header=BB39_4 Depth=1
	s_mov_b64 s[68:69], exec
	v_readlane_b32 s44, v41, 8
	v_readlane_b32 s45, v41, 9
	s_and_b64 s[44:45], s[68:69], s[44:45]
	s_mov_b64 exec, s[44:45]
	s_cbranch_execz .LBB39_2
; %bb.94:                               ;   in Loop: Header=BB39_4 Depth=1
	s_lshl_b64 s[44:45], s[66:67], 4
	v_mov_b32_e32 v0, s54
	v_add_co_u32_e32 v6, vcc, s55, v38
	s_add_u32 s48, s52, s44
	v_addc_co_u32_e32 v7, vcc, v39, v0, vcc
	s_addc_u32 s49, s53, s45
	s_mov_b64 s[70:71], 0
	v_mov_b32_e32 v8, v4
	s_branch .LBB39_96
.LBB39_95:                              ;   in Loop: Header=BB39_96 Depth=2
	v_add_u32_e32 v8, s4, v8
	v_cmp_le_i32_e32 vcc, s19, v8
	s_waitcnt vmcnt(0)
	global_store_dwordx4 v[10:11], v[0:3], off
	s_or_b64 s[70:71], vcc, s[70:71]
	v_mov_b32_e32 v0, s63
	v_add_co_u32_e32 v6, vcc, s62, v6
	v_addc_co_u32_e32 v7, vcc, v7, v0, vcc
	s_andn2_b64 exec, exec, s[70:71]
	s_cbranch_execz .LBB39_2
.LBB39_96:                              ;   Parent Loop BB39_4 Depth=1
                                        ; =>  This Loop Header: Depth=2
                                        ;       Child Loop BB39_97 Depth 3
	v_ashrrev_i32_e32 v9, 31, v8
	v_lshlrev_b64 v[0:1], 4, v[8:9]
	v_mov_b32_e32 v2, s49
	v_add_co_u32_e32 v10, vcc, s48, v0
	v_addc_co_u32_e32 v11, vcc, v2, v1, vcc
	global_load_dwordx4 v[0:3], v[10:11], off
	s_andn2_b64 vcc, exec, s[46:47]
	v_pk_mov_b32 v[12:13], v[6:7], v[6:7] op_sel:[0,1]
	s_mov_b64 s[76:77], s[74:75]
	s_mov_b64 s[78:79], s[72:73]
	s_mov_b32 s50, s18
	s_cbranch_vccnz .LBB39_95
.LBB39_97:                              ;   Parent Loop BB39_4 Depth=1
                                        ;     Parent Loop BB39_96 Depth=2
                                        ; =>    This Inner Loop Header: Depth=3
	global_load_dwordx4 v[14:17], v[12:13], off offset:-8
	global_load_dwordx2 v[46:47], v40, s[78:79]
	global_load_dwordx2 v[48:49], v40, s[76:77]
	s_add_i32 s50, s50, -1
	s_add_u32 s78, s78, -8
	s_addc_u32 s79, s79, -1
	s_add_u32 s76, s76, -8
	v_mov_b32_e32 v5, s95
	s_addc_u32 s77, s77, -1
	s_cmp_eq_u32 s50, 0
	s_waitcnt vmcnt(1)
	v_mul_f64 v[42:43], v[46:47], v[14:15]
	v_mul_f64 v[44:45], v[46:47], v[16:17]
	s_waitcnt vmcnt(0)
	v_fmac_f64_e32 v[42:43], v[0:1], v[48:49]
	v_fmac_f64_e32 v[44:45], v[2:3], v[48:49]
	v_mul_f64 v[14:15], v[48:49], v[14:15]
	v_mul_f64 v[16:17], v[48:49], v[16:17]
	global_store_dwordx4 v[12:13], v[42:45], off offset:-8
	v_add_co_u32_e32 v12, vcc, s94, v12
	v_fma_f64 v[0:1], v[0:1], v[46:47], -v[14:15]
	v_fma_f64 v[2:3], v[2:3], v[46:47], -v[16:17]
	v_addc_co_u32_e32 v13, vcc, v13, v5, vcc
	s_cbranch_scc0 .LBB39_97
	s_branch .LBB39_95
.LBB39_98:
	s_endpgm
	.section	.rodata,"a",@progbits
	.p2align	6, 0x0
	.amdhsa_kernel _ZN9rocsolver6v33100L11lasr_kernelI19rocblas_complex_numIdEdPS3_iEEv13rocblas_side_14rocblas_pivot_15rocblas_direct_T2_S8_PT0_lSA_lT1_lS8_lS8_
		.amdhsa_group_segment_fixed_size 0
		.amdhsa_private_segment_fixed_size 0
		.amdhsa_kernarg_size 352
		.amdhsa_user_sgpr_count 6
		.amdhsa_user_sgpr_private_segment_buffer 1
		.amdhsa_user_sgpr_dispatch_ptr 0
		.amdhsa_user_sgpr_queue_ptr 0
		.amdhsa_user_sgpr_kernarg_segment_ptr 1
		.amdhsa_user_sgpr_dispatch_id 0
		.amdhsa_user_sgpr_flat_scratch_init 0
		.amdhsa_user_sgpr_kernarg_preload_length 0
		.amdhsa_user_sgpr_kernarg_preload_offset 0
		.amdhsa_user_sgpr_private_segment_size 0
		.amdhsa_uses_dynamic_stack 0
		.amdhsa_system_sgpr_private_segment_wavefront_offset 0
		.amdhsa_system_sgpr_workgroup_id_x 1
		.amdhsa_system_sgpr_workgroup_id_y 0
		.amdhsa_system_sgpr_workgroup_id_z 1
		.amdhsa_system_sgpr_workgroup_info 0
		.amdhsa_system_vgpr_workitem_id 0
		.amdhsa_next_free_vgpr 60
		.amdhsa_next_free_sgpr 96
		.amdhsa_accum_offset 60
		.amdhsa_reserve_vcc 1
		.amdhsa_reserve_flat_scratch 0
		.amdhsa_float_round_mode_32 0
		.amdhsa_float_round_mode_16_64 0
		.amdhsa_float_denorm_mode_32 3
		.amdhsa_float_denorm_mode_16_64 3
		.amdhsa_dx10_clamp 1
		.amdhsa_ieee_mode 1
		.amdhsa_fp16_overflow 0
		.amdhsa_tg_split 0
		.amdhsa_exception_fp_ieee_invalid_op 0
		.amdhsa_exception_fp_denorm_src 0
		.amdhsa_exception_fp_ieee_div_zero 0
		.amdhsa_exception_fp_ieee_overflow 0
		.amdhsa_exception_fp_ieee_underflow 0
		.amdhsa_exception_fp_ieee_inexact 0
		.amdhsa_exception_int_div_zero 0
	.end_amdhsa_kernel
	.section	.text._ZN9rocsolver6v33100L11lasr_kernelI19rocblas_complex_numIdEdPS3_iEEv13rocblas_side_14rocblas_pivot_15rocblas_direct_T2_S8_PT0_lSA_lT1_lS8_lS8_,"axG",@progbits,_ZN9rocsolver6v33100L11lasr_kernelI19rocblas_complex_numIdEdPS3_iEEv13rocblas_side_14rocblas_pivot_15rocblas_direct_T2_S8_PT0_lSA_lT1_lS8_lS8_,comdat
.Lfunc_end39:
	.size	_ZN9rocsolver6v33100L11lasr_kernelI19rocblas_complex_numIdEdPS3_iEEv13rocblas_side_14rocblas_pivot_15rocblas_direct_T2_S8_PT0_lSA_lT1_lS8_lS8_, .Lfunc_end39-_ZN9rocsolver6v33100L11lasr_kernelI19rocblas_complex_numIdEdPS3_iEEv13rocblas_side_14rocblas_pivot_15rocblas_direct_T2_S8_PT0_lSA_lT1_lS8_lS8_
                                        ; -- End function
	.section	.AMDGPU.csdata,"",@progbits
; Kernel info:
; codeLenInByte = 5004
; NumSgprs: 100
; NumVgprs: 60
; NumAgprs: 0
; TotalNumVgprs: 60
; ScratchSize: 0
; MemoryBound: 0
; FloatMode: 240
; IeeeMode: 1
; LDSByteSize: 0 bytes/workgroup (compile time only)
; SGPRBlocks: 12
; VGPRBlocks: 7
; NumSGPRsForWavesPerEU: 100
; NumVGPRsForWavesPerEU: 60
; AccumOffset: 60
; Occupancy: 8
; WaveLimiterHint : 0
; COMPUTE_PGM_RSRC2:SCRATCH_EN: 0
; COMPUTE_PGM_RSRC2:USER_SGPR: 6
; COMPUTE_PGM_RSRC2:TRAP_HANDLER: 0
; COMPUTE_PGM_RSRC2:TGID_X_EN: 1
; COMPUTE_PGM_RSRC2:TGID_Y_EN: 0
; COMPUTE_PGM_RSRC2:TGID_Z_EN: 1
; COMPUTE_PGM_RSRC2:TIDIG_COMP_CNT: 0
; COMPUTE_PGM_RSRC3_GFX90A:ACCUM_OFFSET: 14
; COMPUTE_PGM_RSRC3_GFX90A:TG_SPLIT: 0
	.section	.text._ZN9rocsolver6v33100L11scal_kernelId19rocblas_complex_numIdEiEEvT1_T_PT0_S4_,"axG",@progbits,_ZN9rocsolver6v33100L11scal_kernelId19rocblas_complex_numIdEiEEvT1_T_PT0_S4_,comdat
	.globl	_ZN9rocsolver6v33100L11scal_kernelId19rocblas_complex_numIdEiEEvT1_T_PT0_S4_ ; -- Begin function _ZN9rocsolver6v33100L11scal_kernelId19rocblas_complex_numIdEiEEvT1_T_PT0_S4_
	.p2align	8
	.type	_ZN9rocsolver6v33100L11scal_kernelId19rocblas_complex_numIdEiEEvT1_T_PT0_S4_,@function
_ZN9rocsolver6v33100L11scal_kernelId19rocblas_complex_numIdEiEEvT1_T_PT0_S4_: ; @_ZN9rocsolver6v33100L11scal_kernelId19rocblas_complex_numIdEiEEvT1_T_PT0_S4_
; %bb.0:
	s_load_dword s14, s[4:5], 0x0
	s_waitcnt lgkmcnt(0)
	s_cmp_lt_i32 s14, 1
	s_cbranch_scc1 .LBB40_10
; %bb.1:
	s_load_dword s0, s[4:5], 0x2c
	s_load_dword s1, s[4:5], 0x20
	s_load_dwordx4 s[8:11], s[4:5], 0x8
	s_load_dword s3, s[4:5], 0x18
	s_mov_b64 s[4:5], -1
	s_waitcnt lgkmcnt(0)
	s_and_b32 s0, s0, 0xffff
	s_mul_i32 s6, s6, s0
	v_add_u32_e32 v0, s6, v0
	s_mul_i32 s2, s1, s0
	s_cmp_eq_u32 s3, 1
	v_cmp_gt_i32_e64 s[0:1], s14, v0
	s_cbranch_scc1 .LBB40_6
; %bb.2:
	s_and_saveexec_b64 s[4:5], s[0:1]
	s_cbranch_execz .LBB40_5
; %bb.3:
	v_mad_i64_i32 v[2:3], s[6:7], s3, v0, 0
	v_lshlrev_b64 v[2:3], 4, v[2:3]
	v_mov_b32_e32 v1, s11
	v_add_co_u32_e32 v2, vcc, s10, v2
	v_addc_co_u32_e32 v1, vcc, v3, v1, vcc
	s_mul_hi_i32 s7, s3, s2
	s_mul_i32 s6, s3, s2
	v_add_co_u32_e32 v2, vcc, 8, v2
	s_lshl_b64 s[6:7], s[6:7], 4
	v_addc_co_u32_e32 v3, vcc, 0, v1, vcc
	s_mov_b64 s[12:13], 0
	v_mov_b32_e32 v1, s7
	v_mov_b32_e32 v4, v0
.LBB40_4:                               ; =>This Inner Loop Header: Depth=1
	global_load_dwordx4 v[6:9], v[2:3], off offset:-8
	v_add_u32_e32 v4, s2, v4
	v_cmp_le_i32_e32 vcc, s14, v4
	s_or_b64 s[12:13], vcc, s[12:13]
	s_waitcnt vmcnt(0)
	v_mul_f64 v[6:7], v[6:7], s[8:9]
	v_mul_f64 v[8:9], v[8:9], s[8:9]
	global_store_dwordx4 v[2:3], v[6:9], off offset:-8
	v_add_co_u32_e32 v2, vcc, s6, v2
	v_addc_co_u32_e32 v3, vcc, v3, v1, vcc
	s_andn2_b64 exec, exec, s[12:13]
	s_cbranch_execnz .LBB40_4
.LBB40_5:
	s_or_b64 exec, exec, s[4:5]
	s_mov_b64 s[4:5], 0
.LBB40_6:
	s_andn2_b64 vcc, exec, s[4:5]
	s_cbranch_vccnz .LBB40_10
; %bb.7:
	s_and_saveexec_b64 s[4:5], s[0:1]
	s_cbranch_execz .LBB40_10
; %bb.8:
	v_ashrrev_i32_e32 v1, 31, v0
	v_lshlrev_b64 v[2:3], 4, v[0:1]
	v_mov_b32_e32 v1, s11
	v_add_co_u32_e32 v2, vcc, s10, v2
	v_addc_co_u32_e32 v1, vcc, v3, v1, vcc
	s_ashr_i32 s3, s2, 31
	v_add_co_u32_e32 v2, vcc, 8, v2
	s_lshl_b64 s[0:1], s[2:3], 4
	v_addc_co_u32_e32 v3, vcc, 0, v1, vcc
	s_mov_b64 s[4:5], 0
	v_mov_b32_e32 v1, s1
.LBB40_9:                               ; =>This Inner Loop Header: Depth=1
	global_load_dwordx4 v[4:7], v[2:3], off offset:-8
	v_add_u32_e32 v0, s2, v0
	v_cmp_le_i32_e32 vcc, s14, v0
	s_or_b64 s[4:5], vcc, s[4:5]
	s_waitcnt vmcnt(0)
	v_mul_f64 v[4:5], v[4:5], s[8:9]
	v_mul_f64 v[6:7], v[6:7], s[8:9]
	global_store_dwordx4 v[2:3], v[4:7], off offset:-8
	v_add_co_u32_e32 v2, vcc, s0, v2
	v_addc_co_u32_e32 v3, vcc, v3, v1, vcc
	s_andn2_b64 exec, exec, s[4:5]
	s_cbranch_execnz .LBB40_9
.LBB40_10:
	s_endpgm
	.section	.rodata,"a",@progbits
	.p2align	6, 0x0
	.amdhsa_kernel _ZN9rocsolver6v33100L11scal_kernelId19rocblas_complex_numIdEiEEvT1_T_PT0_S4_
		.amdhsa_group_segment_fixed_size 0
		.amdhsa_private_segment_fixed_size 0
		.amdhsa_kernarg_size 288
		.amdhsa_user_sgpr_count 6
		.amdhsa_user_sgpr_private_segment_buffer 1
		.amdhsa_user_sgpr_dispatch_ptr 0
		.amdhsa_user_sgpr_queue_ptr 0
		.amdhsa_user_sgpr_kernarg_segment_ptr 1
		.amdhsa_user_sgpr_dispatch_id 0
		.amdhsa_user_sgpr_flat_scratch_init 0
		.amdhsa_user_sgpr_kernarg_preload_length 0
		.amdhsa_user_sgpr_kernarg_preload_offset 0
		.amdhsa_user_sgpr_private_segment_size 0
		.amdhsa_uses_dynamic_stack 0
		.amdhsa_system_sgpr_private_segment_wavefront_offset 0
		.amdhsa_system_sgpr_workgroup_id_x 1
		.amdhsa_system_sgpr_workgroup_id_y 0
		.amdhsa_system_sgpr_workgroup_id_z 0
		.amdhsa_system_sgpr_workgroup_info 0
		.amdhsa_system_vgpr_workitem_id 0
		.amdhsa_next_free_vgpr 10
		.amdhsa_next_free_sgpr 15
		.amdhsa_accum_offset 12
		.amdhsa_reserve_vcc 1
		.amdhsa_reserve_flat_scratch 0
		.amdhsa_float_round_mode_32 0
		.amdhsa_float_round_mode_16_64 0
		.amdhsa_float_denorm_mode_32 3
		.amdhsa_float_denorm_mode_16_64 3
		.amdhsa_dx10_clamp 1
		.amdhsa_ieee_mode 1
		.amdhsa_fp16_overflow 0
		.amdhsa_tg_split 0
		.amdhsa_exception_fp_ieee_invalid_op 0
		.amdhsa_exception_fp_denorm_src 0
		.amdhsa_exception_fp_ieee_div_zero 0
		.amdhsa_exception_fp_ieee_overflow 0
		.amdhsa_exception_fp_ieee_underflow 0
		.amdhsa_exception_fp_ieee_inexact 0
		.amdhsa_exception_int_div_zero 0
	.end_amdhsa_kernel
	.section	.text._ZN9rocsolver6v33100L11scal_kernelId19rocblas_complex_numIdEiEEvT1_T_PT0_S4_,"axG",@progbits,_ZN9rocsolver6v33100L11scal_kernelId19rocblas_complex_numIdEiEEvT1_T_PT0_S4_,comdat
.Lfunc_end40:
	.size	_ZN9rocsolver6v33100L11scal_kernelId19rocblas_complex_numIdEiEEvT1_T_PT0_S4_, .Lfunc_end40-_ZN9rocsolver6v33100L11scal_kernelId19rocblas_complex_numIdEiEEvT1_T_PT0_S4_
                                        ; -- End function
	.section	.AMDGPU.csdata,"",@progbits
; Kernel info:
; codeLenInByte = 368
; NumSgprs: 19
; NumVgprs: 10
; NumAgprs: 0
; TotalNumVgprs: 10
; ScratchSize: 0
; MemoryBound: 0
; FloatMode: 240
; IeeeMode: 1
; LDSByteSize: 0 bytes/workgroup (compile time only)
; SGPRBlocks: 2
; VGPRBlocks: 1
; NumSGPRsForWavesPerEU: 19
; NumVGPRsForWavesPerEU: 10
; AccumOffset: 12
; Occupancy: 8
; WaveLimiterHint : 0
; COMPUTE_PGM_RSRC2:SCRATCH_EN: 0
; COMPUTE_PGM_RSRC2:USER_SGPR: 6
; COMPUTE_PGM_RSRC2:TRAP_HANDLER: 0
; COMPUTE_PGM_RSRC2:TGID_X_EN: 1
; COMPUTE_PGM_RSRC2:TGID_Y_EN: 0
; COMPUTE_PGM_RSRC2:TGID_Z_EN: 0
; COMPUTE_PGM_RSRC2:TIDIG_COMP_CNT: 0
; COMPUTE_PGM_RSRC3_GFX90A:ACCUM_OFFSET: 2
; COMPUTE_PGM_RSRC3_GFX90A:TG_SPLIT: 0
	.section	.text._ZN9rocsolver6v33100L17bdsqr_lower2upperI19rocblas_complex_numIdEdPS3_S4_EEviiiPT0_lS6_lT1_iilT2_iilPiS6_lS9_,"axG",@progbits,_ZN9rocsolver6v33100L17bdsqr_lower2upperI19rocblas_complex_numIdEdPS3_S4_EEviiiPT0_lS6_lT1_iilT2_iilPiS6_lS9_,comdat
	.globl	_ZN9rocsolver6v33100L17bdsqr_lower2upperI19rocblas_complex_numIdEdPS3_S4_EEviiiPT0_lS6_lT1_iilT2_iilPiS6_lS9_ ; -- Begin function _ZN9rocsolver6v33100L17bdsqr_lower2upperI19rocblas_complex_numIdEdPS3_S4_EEviiiPT0_lS6_lT1_iilT2_iilPiS6_lS9_
	.p2align	8
	.type	_ZN9rocsolver6v33100L17bdsqr_lower2upperI19rocblas_complex_numIdEdPS3_S4_EEviiiPT0_lS6_lT1_iilT2_iilPiS6_lS9_,@function
_ZN9rocsolver6v33100L17bdsqr_lower2upperI19rocblas_complex_numIdEdPS3_S4_EEviiiPT0_lS6_lT1_iilT2_iilPiS6_lS9_: ; @_ZN9rocsolver6v33100L17bdsqr_lower2upperI19rocblas_complex_numIdEdPS3_S4_EEviiiPT0_lS6_lT1_iilT2_iilPiS6_lS9_
; %bb.0:
	s_load_dwordx2 s[0:1], s[4:5], 0x78
	s_mov_b32 s26, s7
	s_ashr_i32 s27, s7, 31
	s_lshl_b64 s[2:3], s[26:27], 2
	s_waitcnt lgkmcnt(0)
	s_add_u32 s0, s0, s2
	s_addc_u32 s1, s1, s3
	s_load_dword s0, s[0:1], 0x8
	s_waitcnt lgkmcnt(0)
	s_cmp_lg_u32 s0, 0
	s_cbranch_scc1 .LBB41_34
; %bb.1:
	s_load_dwordx8 s[8:15], s[4:5], 0x30
	s_load_dwordx4 s[0:3], s[4:5], 0x68
	s_mov_b64 s[6:7], 0
	s_mov_b64 s[24:25], 0
	s_waitcnt lgkmcnt(0)
	s_cmp_eq_u64 s[8:9], 0
	s_cbranch_scc1 .LBB41_3
; %bb.2:
	s_ashr_i32 s17, s10, 31
	s_mov_b32 s16, s10
	s_mul_i32 s10, s26, s13
	s_mul_hi_u32 s13, s26, s12
	s_add_i32 s10, s13, s10
	s_mul_i32 s13, s27, s12
	s_add_i32 s13, s10, s13
	s_mul_i32 s12, s26, s12
	s_lshl_b64 s[12:13], s[12:13], 4
	s_add_u32 s10, s8, s12
	s_addc_u32 s12, s9, s13
	s_lshl_b64 s[8:9], s[16:17], 4
	s_add_u32 s24, s10, s8
	s_addc_u32 s25, s12, s9
.LBB41_3:
	s_load_dwordx2 s[8:9], s[4:5], 0x50
	s_cmp_eq_u64 s[14:15], 0
	s_cbranch_scc1 .LBB41_5
; %bb.4:
	s_load_dwordx2 s[6:7], s[4:5], 0x58
	s_waitcnt lgkmcnt(0)
	s_ashr_i32 s13, s8, 31
	s_mov_b32 s12, s8
	s_mul_i32 s7, s26, s7
	s_mul_hi_u32 s8, s26, s6
	s_mul_i32 s10, s27, s6
	s_add_i32 s7, s8, s7
	s_add_i32 s7, s7, s10
	s_mul_i32 s6, s26, s6
	s_lshl_b64 s[6:7], s[6:7], 4
	s_add_u32 s8, s14, s6
	s_addc_u32 s10, s15, s7
	s_lshl_b64 s[6:7], s[12:13], 4
	s_add_u32 s6, s8, s6
	s_addc_u32 s7, s10, s7
.LBB41_5:
	s_mul_i32 s3, s26, s3
	s_waitcnt lgkmcnt(0)
	s_mul_hi_u32 s8, s26, s2
	s_load_dwordx4 s[20:23], s[4:5], 0x0
	s_add_i32 s3, s8, s3
	s_mul_i32 s8, s27, s2
	s_add_i32 s3, s3, s8
	s_mul_i32 s2, s26, s2
	s_lshl_b64 s[2:3], s[2:3], 3
	s_add_u32 s8, s0, s2
	s_waitcnt lgkmcnt(0)
	s_addc_u32 s23, s1, s3
	v_cmp_eq_u32_e32 vcc, 0, v0
	s_and_saveexec_b64 s[0:1], vcc
	s_cbranch_execz .LBB41_22
; %bb.6:
	s_load_dwordx8 s[12:19], s[4:5], 0x10
	s_waitcnt lgkmcnt(0)
	s_mul_i32 s2, s26, s15
	s_mul_hi_u32 s3, s26, s14
	s_mul_i32 s10, s27, s14
	s_add_i32 s2, s3, s2
	s_add_i32 s3, s2, s10
	s_mul_i32 s2, s26, s14
	s_lshl_b64 s[28:29], s[2:3], 3
	s_add_u32 s2, s12, s28
	s_addc_u32 s3, s13, s29
	s_load_dwordx2 s[30:31], s[2:3], 0x0
	s_add_i32 s14, s20, -1
	s_cmp_lt_i32 s20, 2
	s_waitcnt lgkmcnt(0)
	v_pk_mov_b32 v[4:5], s[30:31], s[30:31] op_sel:[0,1]
	s_cbranch_scc1 .LBB41_21
; %bb.7:
	s_mul_i32 s10, s26, s19
	s_mul_hi_u32 s15, s26, s18
	s_add_i32 s10, s15, s10
	s_mul_i32 s15, s27, s18
	s_add_i32 s19, s10, s15
	s_mul_i32 s18, s26, s18
	s_lshl_b64 s[18:19], s[18:19], 3
	s_add_u32 s34, s18, s16
	s_addc_u32 s35, s19, s17
	s_or_b32 s10, s22, s21
	s_cmp_lg_u32 s10, 0
	s_cselect_b64 s[18:19], -1, 0
	s_add_u32 s26, s8, 32
	s_addc_u32 s27, s23, 0
	s_load_dwordx2 s[36:37], s[34:35], 0x0
	s_add_u32 s10, s28, s12
	s_addc_u32 s13, s29, s13
	s_add_u32 s12, s10, 8
	s_addc_u32 s13, s13, 0
	s_add_u32 s28, s34, 8
	v_pk_mov_b32 v[4:5], s[30:31], s[30:31] op_sel:[0,1]
	s_mov_b32 s30, 0
	s_mov_b32 s17, 0
	s_addc_u32 s29, s35, 0
	s_waitcnt lgkmcnt(0)
	v_pk_mov_b32 v[2:3], s[36:37], s[36:37] op_sel:[0,1]
	s_brev_b32 s31, 8
	v_mov_b32_e32 v1, 0x260
	v_mov_b32_e32 v10, 0
	s_mov_b64 s[34:35], s[26:27]
	s_mov_b32 s10, 0
	s_branch .LBB41_9
.LBB41_8:                               ;   in Loop: Header=BB41_9 Depth=1
	s_add_i32 s10, s10, 1
	s_add_u32 s34, s34, 8
	s_addc_u32 s35, s35, 0
	s_add_u32 s12, s12, 8
	s_addc_u32 s13, s13, 0
	;; [unrolled: 2-line block ×3, first 2 shown]
	s_cmp_lg_u32 s14, s10
	s_waitcnt vmcnt(0)
	v_mul_f64 v[4:5], v[6:7], v[4:5]
	s_cbranch_scc0 .LBB41_21
.LBB41_9:                               ; =>This Inner Loop Header: Depth=1
	v_cmp_eq_f64_e32 vcc, 0, v[2:3]
	v_pk_mov_b32 v[8:9], 0, 0
	s_cbranch_vccnz .LBB41_13
; %bb.10:                               ;   in Loop: Header=BB41_9 Depth=1
	v_cmp_neq_f64_e32 vcc, 0, v[4:5]
	s_cbranch_vccz .LBB41_14
; %bb.11:                               ;   in Loop: Header=BB41_9 Depth=1
	v_cmp_ngt_f64_e64 s[36:37], |v[2:3]|, |v[4:5]|
	s_and_b64 vcc, exec, s[36:37]
	s_cbranch_vccz .LBB41_15
; %bb.12:                               ;   in Loop: Header=BB41_9 Depth=1
	v_div_scale_f64 v[6:7], s[36:37], v[4:5], v[4:5], -v[2:3]
	v_rcp_f64_e32 v[8:9], v[6:7]
	v_div_scale_f64 v[12:13], vcc, -v[2:3], v[4:5], -v[2:3]
	v_fma_f64 v[14:15], -v[6:7], v[8:9], 1.0
	v_fmac_f64_e32 v[8:9], v[8:9], v[14:15]
	v_fma_f64 v[14:15], -v[6:7], v[8:9], 1.0
	v_fmac_f64_e32 v[8:9], v[8:9], v[14:15]
	v_mul_f64 v[14:15], v[12:13], v[8:9]
	v_fma_f64 v[6:7], -v[6:7], v[14:15], v[12:13]
	v_div_fmas_f64 v[6:7], v[6:7], v[8:9], v[14:15]
	v_div_fixup_f64 v[8:9], v[6:7], v[4:5], -v[2:3]
	v_fma_f64 v[6:7], v[8:9], v[8:9], 1.0
	v_cmp_gt_f64_e32 vcc, s[30:31], v[6:7]
	v_cndmask_b32_e64 v11, 0, 1, vcc
	v_lshlrev_b32_e32 v11, 8, v11
	v_ldexp_f64 v[6:7], v[6:7], v11
	v_rsq_f64_e32 v[12:13], v[6:7]
	s_and_b64 s[36:37], vcc, exec
	s_cselect_b32 s15, 0xffffff80, 0
	v_cmp_class_f64_e32 vcc, v[6:7], v1
	v_mul_f64 v[14:15], v[6:7], v[12:13]
	v_mul_f64 v[12:13], v[12:13], 0.5
	v_fma_f64 v[16:17], -v[12:13], v[14:15], 0.5
	v_fmac_f64_e32 v[14:15], v[14:15], v[16:17]
	v_fma_f64 v[18:19], -v[14:15], v[14:15], v[6:7]
	v_fmac_f64_e32 v[12:13], v[12:13], v[16:17]
	v_fmac_f64_e32 v[14:15], v[18:19], v[12:13]
	v_fma_f64 v[16:17], -v[14:15], v[14:15], v[6:7]
	v_fmac_f64_e32 v[14:15], v[16:17], v[12:13]
	v_ldexp_f64 v[12:13], v[14:15], s15
	v_cndmask_b32_e32 v7, v13, v7, vcc
	v_cndmask_b32_e32 v6, v12, v6, vcc
	v_div_scale_f64 v[12:13], s[36:37], v[6:7], v[6:7], 1.0
	v_rcp_f64_e32 v[14:15], v[12:13]
	v_fma_f64 v[16:17], -v[12:13], v[14:15], 1.0
	v_fmac_f64_e32 v[14:15], v[14:15], v[16:17]
	v_fma_f64 v[16:17], -v[12:13], v[14:15], 1.0
	v_fmac_f64_e32 v[14:15], v[14:15], v[16:17]
	v_div_scale_f64 v[16:17], vcc, 1.0, v[6:7], 1.0
	v_mul_f64 v[18:19], v[16:17], v[14:15]
	v_fma_f64 v[12:13], -v[12:13], v[18:19], v[16:17]
	s_nop 1
	v_div_fmas_f64 v[12:13], v[12:13], v[14:15], v[18:19]
	v_div_fixup_f64 v[6:7], v[12:13], v[6:7], 1.0
	v_mul_f64 v[8:9], v[8:9], v[6:7]
	s_cbranch_execz .LBB41_16
	s_branch .LBB41_17
.LBB41_13:                              ;   in Loop: Header=BB41_9 Depth=1
	v_mov_b32_e32 v6, 0
	v_mov_b32_e32 v7, 0x3ff00000
	s_branch .LBB41_19
.LBB41_14:                              ;   in Loop: Header=BB41_9 Depth=1
                                        ; implicit-def: $vgpr4_vgpr5
                                        ; implicit-def: $vgpr6_vgpr7
                                        ; implicit-def: $vgpr8_vgpr9
	s_cbranch_execnz .LBB41_18
	s_branch .LBB41_19
.LBB41_15:                              ;   in Loop: Header=BB41_9 Depth=1
                                        ; implicit-def: $vgpr6_vgpr7
                                        ; implicit-def: $vgpr8_vgpr9
.LBB41_16:                              ;   in Loop: Header=BB41_9 Depth=1
	v_div_scale_f64 v[6:7], s[36:37], v[2:3], v[2:3], -v[4:5]
	v_rcp_f64_e32 v[8:9], v[6:7]
	v_div_scale_f64 v[12:13], vcc, -v[4:5], v[2:3], -v[4:5]
	v_fma_f64 v[14:15], -v[6:7], v[8:9], 1.0
	v_fmac_f64_e32 v[8:9], v[8:9], v[14:15]
	v_fma_f64 v[14:15], -v[6:7], v[8:9], 1.0
	v_fmac_f64_e32 v[8:9], v[8:9], v[14:15]
	v_mul_f64 v[14:15], v[12:13], v[8:9]
	v_fma_f64 v[6:7], -v[6:7], v[14:15], v[12:13]
	v_div_fmas_f64 v[6:7], v[6:7], v[8:9], v[14:15]
	v_div_fixup_f64 v[6:7], v[6:7], v[2:3], -v[4:5]
	v_fma_f64 v[8:9], v[6:7], v[6:7], 1.0
	v_cmp_gt_f64_e32 vcc, s[30:31], v[8:9]
	v_cndmask_b32_e64 v11, 0, 1, vcc
	v_lshlrev_b32_e32 v11, 8, v11
	v_ldexp_f64 v[8:9], v[8:9], v11
	v_rsq_f64_e32 v[12:13], v[8:9]
	s_and_b64 s[36:37], vcc, exec
	s_cselect_b32 s15, 0xffffff80, 0
	v_cmp_class_f64_e32 vcc, v[8:9], v1
	v_mul_f64 v[14:15], v[8:9], v[12:13]
	v_mul_f64 v[12:13], v[12:13], 0.5
	v_fma_f64 v[16:17], -v[12:13], v[14:15], 0.5
	v_fmac_f64_e32 v[14:15], v[14:15], v[16:17]
	v_fma_f64 v[18:19], -v[14:15], v[14:15], v[8:9]
	v_fmac_f64_e32 v[12:13], v[12:13], v[16:17]
	v_fmac_f64_e32 v[14:15], v[18:19], v[12:13]
	v_fma_f64 v[16:17], -v[14:15], v[14:15], v[8:9]
	v_fmac_f64_e32 v[14:15], v[16:17], v[12:13]
	v_ldexp_f64 v[12:13], v[14:15], s15
	v_cndmask_b32_e32 v9, v13, v9, vcc
	v_cndmask_b32_e32 v8, v12, v8, vcc
	v_div_scale_f64 v[12:13], s[36:37], v[8:9], v[8:9], 1.0
	v_rcp_f64_e32 v[14:15], v[12:13]
	v_fma_f64 v[16:17], -v[12:13], v[14:15], 1.0
	v_fmac_f64_e32 v[14:15], v[14:15], v[16:17]
	v_fma_f64 v[16:17], -v[12:13], v[14:15], 1.0
	v_fmac_f64_e32 v[14:15], v[14:15], v[16:17]
	v_div_scale_f64 v[16:17], vcc, 1.0, v[8:9], 1.0
	v_mul_f64 v[18:19], v[16:17], v[14:15]
	v_fma_f64 v[12:13], -v[12:13], v[18:19], v[16:17]
	s_nop 1
	v_div_fmas_f64 v[12:13], v[12:13], v[14:15], v[18:19]
	v_div_fixup_f64 v[8:9], v[12:13], v[8:9], 1.0
	v_mul_f64 v[6:7], v[6:7], v[8:9]
.LBB41_17:                              ;   in Loop: Header=BB41_9 Depth=1
	v_mul_f64 v[12:13], v[2:3], v[8:9]
	v_fma_f64 v[4:5], v[4:5], v[6:7], -v[12:13]
	s_branch .LBB41_19
.LBB41_18:                              ;   in Loop: Header=BB41_9 Depth=1
	v_xor_b32_e32 v3, 0x80000000, v3
	v_mov_b32_e32 v8, 0
	v_pk_mov_b32 v[6:7], 0, 0
	v_mov_b32_e32 v9, 0x3ff00000
	v_pk_mov_b32 v[4:5], v[2:3], v[2:3] op_sel:[0,1]
.LBB41_19:                              ;   in Loop: Header=BB41_9 Depth=1
	global_load_dwordx2 v[12:13], v10, s[12:13]
	s_andn2_b64 vcc, exec, s[18:19]
	global_store_dwordx2 v10, v[4:5], s[12:13] offset:-8
	global_load_dwordx2 v[2:3], v10, s[28:29]
	s_waitcnt vmcnt(2)
	v_mul_f64 v[4:5], v[12:13], -v[8:9]
	global_store_dwordx2 v10, v[4:5], s[28:29] offset:-8
	global_load_dwordx2 v[4:5], v10, s[12:13]
	s_cbranch_vccnz .LBB41_8
; %bb.20:                               ;   in Loop: Header=BB41_9 Depth=1
	s_add_i32 s16, s20, s10
	s_lshl_b64 s[36:37], s[16:17], 3
	s_add_u32 s36, s26, s36
	s_addc_u32 s37, s27, s37
	global_store_dwordx2 v10, v[6:7], s[34:35]
	global_store_dwordx2 v10, v[8:9], s[36:37]
	s_branch .LBB41_8
.LBB41_21:
	s_ashr_i32 s15, s14, 31
	s_lshl_b64 s[12:13], s[14:15], 3
	s_add_u32 s2, s2, s12
	s_addc_u32 s3, s3, s13
	v_mov_b32_e32 v1, 0
	global_store_dwordx2 v1, v[4:5], s[2:3]
.LBB41_22:
	s_or_b64 exec, exec, s[0:1]
	v_cmp_gt_i32_e32 vcc, s21, v0
	s_barrier
	s_and_saveexec_b64 s[2:3], vcc
	s_cbranch_execz .LBB41_28
; %bb.23:
	s_load_dword s10, s[4:5], 0x8c
	s_add_i32 s28, s20, -1
	s_cmp_gt_i32 s20, 1
	s_cselect_b64 s[0:1], -1, 0
	s_mul_i32 s18, s28, s11
	s_waitcnt lgkmcnt(0)
	s_and_b32 s29, s10, 0xffff
	s_add_u32 s12, s8, 32
	s_addc_u32 s13, s23, 0
	s_ashr_i32 s19, s18, 31
	s_ashr_i32 s15, s11, 31
	s_mov_b32 s14, s11
	s_lshl_b64 s[10:11], s[14:15], 4
	s_mov_b32 s15, 0
	s_mov_b32 s14, s20
	v_cndmask_b32_e64 v2, 0, 1, s[0:1]
	s_lshl_b64 s[18:19], s[18:19], 4
	s_lshl_b64 s[14:15], s[14:15], 3
	s_mov_b64 s[16:17], 0
	v_mov_b32_e32 v1, s25
	v_cmp_ne_u32_e64 s[0:1], 1, v2
	v_mov_b32_e32 v12, 0
	v_mov_b32_e32 v13, s19
	;; [unrolled: 1-line block ×3, first 2 shown]
	s_branch .LBB41_25
.LBB41_24:                              ;   in Loop: Header=BB41_25 Depth=1
	v_add_co_u32_e32 v8, vcc, s18, v8
	v_addc_co_u32_e32 v9, vcc, v9, v13, vcc
	v_add_u32_e32 v6, s29, v6
	v_cmp_le_i32_e32 vcc, s21, v6
	s_or_b64 s[16:17], vcc, s[16:17]
	s_waitcnt vmcnt(0) lgkmcnt(0)
	flat_store_dwordx4 v[8:9], v[2:5]
	s_andn2_b64 exec, exec, s[16:17]
	s_cbranch_execz .LBB41_28
.LBB41_25:                              ; =>This Loop Header: Depth=1
                                        ;     Child Loop BB41_27 Depth 2
	v_ashrrev_i32_e32 v7, 31, v6
	v_lshlrev_b64 v[2:3], 4, v[6:7]
	v_add_co_u32_e32 v8, vcc, s24, v2
	v_addc_co_u32_e32 v9, vcc, v1, v3, vcc
	flat_load_dwordx4 v[2:5], v[8:9]
	s_and_b64 vcc, exec, s[0:1]
	s_cbranch_vccnz .LBB41_24
; %bb.26:                               ;   in Loop: Header=BB41_25 Depth=1
	s_mov_b32 s19, s28
	s_mov_b64 s[26:27], s[12:13]
	v_pk_mov_b32 v[10:11], v[8:9], v[8:9] op_sel:[0,1]
.LBB41_27:                              ;   Parent Loop BB41_25 Depth=1
                                        ; =>  This Inner Loop Header: Depth=2
	v_mov_b32_e32 v7, s11
	v_add_co_u32_e32 v22, vcc, s10, v10
	v_addc_co_u32_e32 v23, vcc, v11, v7, vcc
	s_add_u32 s30, s26, s14
	flat_load_dwordx4 v[14:17], v[22:23]
	s_addc_u32 s31, s27, s15
	global_load_dwordx2 v[24:25], v12, s[30:31]
	global_load_dwordx2 v[26:27], v12, s[26:27]
	s_add_u32 s26, s26, 8
	s_addc_u32 s27, s27, 0
	s_add_i32 s19, s19, -1
	s_cmp_lg_u32 s19, 0
	s_waitcnt vmcnt(0) lgkmcnt(0)
	v_mul_f64 v[18:19], v[14:15], v[24:25]
	v_mul_f64 v[20:21], v[16:17], v[24:25]
	v_fma_f64 v[18:19], v[2:3], v[26:27], -v[18:19]
	v_fma_f64 v[20:21], v[4:5], v[26:27], -v[20:21]
	v_mul_f64 v[2:3], v[2:3], v[24:25]
	v_mul_f64 v[4:5], v[4:5], v[24:25]
	flat_store_dwordx4 v[10:11], v[18:21]
	v_fmac_f64_e32 v[2:3], v[14:15], v[26:27]
	v_fmac_f64_e32 v[4:5], v[16:17], v[26:27]
	v_pk_mov_b32 v[10:11], v[22:23], v[22:23] op_sel:[0,1]
	s_cbranch_scc1 .LBB41_27
	s_branch .LBB41_24
.LBB41_28:
	s_or_b64 exec, exec, s[2:3]
	v_cmp_gt_i32_e32 vcc, s22, v0
	s_and_saveexec_b64 s[0:1], vcc
	s_cbranch_execz .LBB41_34
; %bb.29:
	s_load_dword s3, s[4:5], 0x8c
	s_add_i32 s2, s20, -1
	s_cmp_gt_i32 s20, 1
	s_cselect_b64 s[0:1], -1, 0
	s_mov_b32 s21, 0
	s_waitcnt lgkmcnt(0)
	s_and_b32 s18, s3, 0xffff
	s_add_u32 s4, s8, 32
	s_addc_u32 s5, s23, 0
	s_ashr_i32 s3, s2, 31
	v_cndmask_b32_e64 v2, 0, 1, s[0:1]
	v_mul_lo_u32 v6, v0, s9
	s_mul_i32 s8, s9, s18
	s_lshl_b64 s[10:11], s[20:21], 3
	s_mov_b64 s[12:13], 0
	v_mov_b32_e32 v1, s7
	v_cmp_ne_u32_e64 s[0:1], 1, v2
	v_mov_b32_e32 v12, 0
	s_lshl_b64 s[14:15], s[2:3], 4
	s_branch .LBB41_31
.LBB41_30:                              ;   in Loop: Header=BB41_31 Depth=1
	v_mov_b32_e32 v7, s15
	v_add_co_u32_e32 v8, vcc, s14, v8
	v_addc_co_u32_e32 v9, vcc, v9, v7, vcc
	v_add_u32_e32 v0, s18, v0
	v_cmp_le_i32_e32 vcc, s22, v0
	s_or_b64 s[12:13], vcc, s[12:13]
	v_add_u32_e32 v6, s8, v6
	s_waitcnt vmcnt(0) lgkmcnt(0)
	flat_store_dwordx4 v[8:9], v[2:5]
	s_andn2_b64 exec, exec, s[12:13]
	s_cbranch_execz .LBB41_34
.LBB41_31:                              ; =>This Loop Header: Depth=1
                                        ;     Child Loop BB41_33 Depth 2
	v_mul_lo_u32 v2, v0, s9
	v_ashrrev_i32_e32 v3, 31, v2
	v_lshlrev_b64 v[2:3], 4, v[2:3]
	v_add_co_u32_e32 v8, vcc, s6, v2
	v_addc_co_u32_e32 v9, vcc, v1, v3, vcc
	flat_load_dwordx4 v[2:5], v[8:9]
	s_and_b64 vcc, exec, s[0:1]
	s_cbranch_vccnz .LBB41_30
; %bb.32:                               ;   in Loop: Header=BB41_31 Depth=1
	v_ashrrev_i32_e32 v7, 31, v6
	v_lshlrev_b64 v[10:11], 4, v[6:7]
	v_add_co_u32_e32 v10, vcc, s6, v10
	v_addc_co_u32_e32 v11, vcc, v1, v11, vcc
	s_mov_b32 s3, s2
	s_mov_b64 s[16:17], s[4:5]
.LBB41_33:                              ;   Parent Loop BB41_31 Depth=1
                                        ; =>  This Inner Loop Header: Depth=2
	s_add_u32 s20, s16, s10
	s_addc_u32 s21, s17, s11
	flat_load_dwordx4 v[14:17], v[10:11] offset:16
	global_load_dwordx2 v[22:23], v12, s[16:17]
	global_load_dwordx2 v[24:25], v12, s[20:21]
	v_add_co_u32_e32 v26, vcc, 16, v10
	s_add_u32 s16, s16, 8
	v_addc_co_u32_e32 v27, vcc, 0, v11, vcc
	s_addc_u32 s17, s17, 0
	s_add_i32 s3, s3, -1
	s_cmp_lg_u32 s3, 0
	s_waitcnt vmcnt(0) lgkmcnt(0)
	v_mul_f64 v[18:19], v[14:15], v[24:25]
	v_mul_f64 v[20:21], v[16:17], v[24:25]
	v_fma_f64 v[18:19], v[2:3], v[22:23], -v[18:19]
	v_fma_f64 v[20:21], v[4:5], v[22:23], -v[20:21]
	v_mul_f64 v[2:3], v[2:3], v[24:25]
	v_mul_f64 v[4:5], v[4:5], v[24:25]
	flat_store_dwordx4 v[10:11], v[18:21]
	v_fmac_f64_e32 v[2:3], v[14:15], v[22:23]
	v_fmac_f64_e32 v[4:5], v[16:17], v[22:23]
	v_pk_mov_b32 v[10:11], v[26:27], v[26:27] op_sel:[0,1]
	s_cbranch_scc1 .LBB41_33
	s_branch .LBB41_30
.LBB41_34:
	s_endpgm
	.section	.rodata,"a",@progbits
	.p2align	6, 0x0
	.amdhsa_kernel _ZN9rocsolver6v33100L17bdsqr_lower2upperI19rocblas_complex_numIdEdPS3_S4_EEviiiPT0_lS6_lT1_iilT2_iilPiS6_lS9_
		.amdhsa_group_segment_fixed_size 0
		.amdhsa_private_segment_fixed_size 0
		.amdhsa_kernarg_size 384
		.amdhsa_user_sgpr_count 6
		.amdhsa_user_sgpr_private_segment_buffer 1
		.amdhsa_user_sgpr_dispatch_ptr 0
		.amdhsa_user_sgpr_queue_ptr 0
		.amdhsa_user_sgpr_kernarg_segment_ptr 1
		.amdhsa_user_sgpr_dispatch_id 0
		.amdhsa_user_sgpr_flat_scratch_init 0
		.amdhsa_user_sgpr_kernarg_preload_length 0
		.amdhsa_user_sgpr_kernarg_preload_offset 0
		.amdhsa_user_sgpr_private_segment_size 0
		.amdhsa_uses_dynamic_stack 0
		.amdhsa_system_sgpr_private_segment_wavefront_offset 0
		.amdhsa_system_sgpr_workgroup_id_x 1
		.amdhsa_system_sgpr_workgroup_id_y 1
		.amdhsa_system_sgpr_workgroup_id_z 0
		.amdhsa_system_sgpr_workgroup_info 0
		.amdhsa_system_vgpr_workitem_id 0
		.amdhsa_next_free_vgpr 28
		.amdhsa_next_free_sgpr 38
		.amdhsa_accum_offset 28
		.amdhsa_reserve_vcc 1
		.amdhsa_reserve_flat_scratch 0
		.amdhsa_float_round_mode_32 0
		.amdhsa_float_round_mode_16_64 0
		.amdhsa_float_denorm_mode_32 3
		.amdhsa_float_denorm_mode_16_64 3
		.amdhsa_dx10_clamp 1
		.amdhsa_ieee_mode 1
		.amdhsa_fp16_overflow 0
		.amdhsa_tg_split 0
		.amdhsa_exception_fp_ieee_invalid_op 0
		.amdhsa_exception_fp_denorm_src 0
		.amdhsa_exception_fp_ieee_div_zero 0
		.amdhsa_exception_fp_ieee_overflow 0
		.amdhsa_exception_fp_ieee_underflow 0
		.amdhsa_exception_fp_ieee_inexact 0
		.amdhsa_exception_int_div_zero 0
	.end_amdhsa_kernel
	.section	.text._ZN9rocsolver6v33100L17bdsqr_lower2upperI19rocblas_complex_numIdEdPS3_S4_EEviiiPT0_lS6_lT1_iilT2_iilPiS6_lS9_,"axG",@progbits,_ZN9rocsolver6v33100L17bdsqr_lower2upperI19rocblas_complex_numIdEdPS3_S4_EEviiiPT0_lS6_lT1_iilT2_iilPiS6_lS9_,comdat
.Lfunc_end41:
	.size	_ZN9rocsolver6v33100L17bdsqr_lower2upperI19rocblas_complex_numIdEdPS3_S4_EEviiiPT0_lS6_lT1_iilT2_iilPiS6_lS9_, .Lfunc_end41-_ZN9rocsolver6v33100L17bdsqr_lower2upperI19rocblas_complex_numIdEdPS3_S4_EEviiiPT0_lS6_lT1_iilT2_iilPiS6_lS9_
                                        ; -- End function
	.section	.AMDGPU.csdata,"",@progbits
; Kernel info:
; codeLenInByte = 2144
; NumSgprs: 42
; NumVgprs: 28
; NumAgprs: 0
; TotalNumVgprs: 28
; ScratchSize: 0
; MemoryBound: 0
; FloatMode: 240
; IeeeMode: 1
; LDSByteSize: 0 bytes/workgroup (compile time only)
; SGPRBlocks: 5
; VGPRBlocks: 3
; NumSGPRsForWavesPerEU: 42
; NumVGPRsForWavesPerEU: 28
; AccumOffset: 28
; Occupancy: 8
; WaveLimiterHint : 0
; COMPUTE_PGM_RSRC2:SCRATCH_EN: 0
; COMPUTE_PGM_RSRC2:USER_SGPR: 6
; COMPUTE_PGM_RSRC2:TRAP_HANDLER: 0
; COMPUTE_PGM_RSRC2:TGID_X_EN: 1
; COMPUTE_PGM_RSRC2:TGID_Y_EN: 1
; COMPUTE_PGM_RSRC2:TGID_Z_EN: 0
; COMPUTE_PGM_RSRC2:TIDIG_COMP_CNT: 0
; COMPUTE_PGM_RSRC3_GFX90A:ACCUM_OFFSET: 6
; COMPUTE_PGM_RSRC3_GFX90A:TG_SPLIT: 0
	.section	.text._ZN9rocsolver6v33100L13bdsqr_computeILi256E19rocblas_complex_numIdEdPS3_S4_S4_EEviiiiPT1_lS6_lT2_iilT3_iilT4_iiliS5_S5_S5_S5_PiS6_ilSA_,"axG",@progbits,_ZN9rocsolver6v33100L13bdsqr_computeILi256E19rocblas_complex_numIdEdPS3_S4_S4_EEviiiiPT1_lS6_lT2_iilT3_iilT4_iiliS5_S5_S5_S5_PiS6_ilSA_,comdat
	.globl	_ZN9rocsolver6v33100L13bdsqr_computeILi256E19rocblas_complex_numIdEdPS3_S4_S4_EEviiiiPT1_lS6_lT2_iilT3_iilT4_iiliS5_S5_S5_S5_PiS6_ilSA_ ; -- Begin function _ZN9rocsolver6v33100L13bdsqr_computeILi256E19rocblas_complex_numIdEdPS3_S4_S4_EEviiiiPT1_lS6_lT2_iilT3_iilT4_iiliS5_S5_S5_S5_PiS6_ilSA_
	.p2align	8
	.type	_ZN9rocsolver6v33100L13bdsqr_computeILi256E19rocblas_complex_numIdEdPS3_S4_S4_EEviiiiPT1_lS6_lT2_iilT3_iilT4_iiliS5_S5_S5_S5_PiS6_ilSA_,@function
_ZN9rocsolver6v33100L13bdsqr_computeILi256E19rocblas_complex_numIdEdPS3_S4_S4_EEviiiiPT1_lS6_lT2_iilT3_iilT4_iiliS5_S5_S5_S5_PiS6_ilSA_: ; @_ZN9rocsolver6v33100L13bdsqr_computeILi256E19rocblas_complex_numIdEdPS3_S4_S4_EEviiiiPT1_lS6_lT2_iilT3_iilT4_iiliS5_S5_S5_S5_PiS6_ilSA_
; %bb.0:
	s_load_dwordx4 s[0:3], s[4:5], 0xb8
	s_ashr_i32 s9, s8, 31
	s_lshl_b64 s[10:11], s[8:9], 2
	s_waitcnt lgkmcnt(0)
	s_add_u32 s2, s2, s10
	s_addc_u32 s3, s3, s11
	s_load_dword s2, s[2:3], 0x8
	s_waitcnt lgkmcnt(0)
	s_cmp_lg_u32 s2, 0
	s_cbranch_scc1 .LBB42_180
; %bb.1:
	s_load_dwordx8 s[20:27], s[4:5], 0x30
	s_mov_b64 s[34:35], 0
	s_mov_b64 s[48:49], 0
	s_waitcnt lgkmcnt(0)
	s_cmp_eq_u64 s[20:21], 0
	s_cbranch_scc1 .LBB42_3
; %bb.2:
	s_mul_i32 s6, s8, s25
	s_mul_hi_u32 s10, s8, s24
	s_add_i32 s6, s10, s6
	s_mul_i32 s10, s9, s24
	s_add_i32 s11, s6, s10
	s_mul_i32 s10, s8, s24
	s_ashr_i32 s3, s22, 31
	s_lshl_b64 s[10:11], s[10:11], 4
	s_mov_b32 s2, s22
	s_add_u32 s6, s20, s10
	s_addc_u32 s10, s21, s11
	s_lshl_b64 s[2:3], s[2:3], 4
	s_add_u32 s48, s6, s2
	s_addc_u32 s49, s10, s3
.LBB42_3:
	s_load_dwordx2 s[60:61], s[4:5], 0x50
	s_load_dwordx4 s[12:15], s[4:5], 0x58
	s_cmp_eq_u64 s[26:27], 0
	s_cbranch_scc1 .LBB42_5
; %bb.4:
	s_waitcnt lgkmcnt(0)
	s_mul_i32 s6, s8, s13
	s_mul_hi_u32 s10, s8, s12
	s_add_i32 s6, s10, s6
	s_mul_i32 s10, s9, s12
	s_add_i32 s11, s6, s10
	s_mul_i32 s10, s8, s12
	s_ashr_i32 s3, s60, 31
	s_lshl_b64 s[10:11], s[10:11], 4
	s_mov_b32 s2, s60
	s_add_u32 s6, s26, s10
	s_addc_u32 s10, s27, s11
	s_lshl_b64 s[2:3], s[2:3], 4
	s_add_u32 s34, s6, s2
	s_addc_u32 s35, s10, s3
.LBB42_5:
	s_load_dwordx2 s[50:51], s[4:5], 0x68
	s_waitcnt lgkmcnt(0)
	s_cmp_eq_u64 s[14:15], 0
	s_mov_b64 s[52:53], 0
	s_cbranch_scc1 .LBB42_7
; %bb.6:
	s_load_dwordx2 s[2:3], s[4:5], 0x70
	s_ashr_i32 s11, s50, 31
	s_mov_b32 s10, s50
	s_waitcnt lgkmcnt(0)
	s_mul_i32 s3, s8, s3
	s_mul_hi_u32 s6, s8, s2
	s_mul_i32 s12, s9, s2
	s_add_i32 s3, s6, s3
	s_add_i32 s3, s3, s12
	s_mul_i32 s2, s8, s2
	s_lshl_b64 s[2:3], s[2:3], 4
	s_add_u32 s6, s14, s2
	s_addc_u32 s12, s15, s3
	s_lshl_b64 s[2:3], s[10:11], 4
	s_add_u32 s52, s6, s2
	s_addc_u32 s53, s12, s3
.LBB42_7:
	s_load_dwordx8 s[24:31], s[4:5], 0x90
	s_mul_i32 s1, s8, s1
	s_mul_hi_u32 s2, s8, s0
	s_add_i32 s1, s2, s1
	s_mul_i32 s2, s9, s0
	s_add_i32 s1, s1, s2
	s_mul_i32 s0, s8, s0
	s_lshl_b64 s[10:11], s[0:1], 3
	s_waitcnt lgkmcnt(0)
	s_add_u32 s54, s30, s10
	s_addc_u32 s55, s31, s11
	s_load_dwordx2 s[0:1], s[54:55], 0x10
	s_waitcnt lgkmcnt(0)
	v_cvt_i32_f64_e32 v1, s[0:1]
	v_cmp_ge_i32_e32 vcc, s7, v1
	s_cbranch_vccnz .LBB42_180
; %bb.8:
	s_load_dwordx4 s[44:47], s[4:5], 0x0
	s_load_dwordx8 s[36:43], s[4:5], 0x10
                                        ; implicit-def: $vgpr44 : SGPR spill to VGPR lane
	v_lshlrev_b32_e32 v18, 3, v0
	v_mul_lo_u32 v23, v0, s23
	v_mul_lo_u32 v25, v0, s51
	s_waitcnt lgkmcnt(0)
	s_mul_i32 s0, s8, s44
	s_lshl_b32 s0, s0, 1
	s_ashr_i32 s1, s0, 31
	s_lshl_b64 s[0:1], s[0:1], 2
	s_mul_i32 s2, s8, s39
	s_mul_hi_u32 s3, s8, s38
	s_add_u32 s6, s28, s0
	s_addc_u32 s20, s29, s1
	s_add_i32 s0, s3, s2
	s_mul_i32 s1, s9, s38
	s_add_i32 s1, s0, s1
	s_mul_i32 s0, s8, s38
	s_lshl_b64 s[0:1], s[0:1], 3
	s_add_u32 s22, s36, s0
	s_addc_u32 s33, s37, s1
	s_mul_i32 s0, s8, s43
	s_mul_hi_u32 s1, s8, s42
	s_add_i32 s0, s1, s0
	s_mul_i32 s1, s9, s42
	s_add_i32 s1, s0, s1
	s_mul_i32 s0, s8, s42
	v_writelane_b32 v44, s0, 0
	s_lshl_b64 s[12:13], s[0:1], 3
	s_add_u32 s44, s40, s12
	s_addc_u32 s50, s41, s13
	s_cmp_lg_u32 s45, 0
	s_cselect_b64 s[36:37], -1, 0
	s_or_b32 s8, s47, s46
	s_cmp_eq_u32 s8, 0
	v_writelane_b32 v44, s1, 1
	s_cselect_b64 s[8:9], -1, 0
	v_writelane_b32 v44, s8, 2
	s_cmp_lg_u64 s[48:49], 0
	v_writelane_b32 v44, s9, 3
	s_cselect_b64 s[8:9], -1, 0
	s_and_b64 s[90:91], s[36:37], s[8:9]
	s_add_u32 s56, s4, 0xc8
	s_addc_u32 s57, s5, 0
	s_cmp_lg_u64 s[34:35], 0
	s_cselect_b64 s[8:9], -1, 0
	s_cmp_lg_u32 s46, 0
	s_cselect_b64 s[14:15], -1, 0
	s_and_b64 s[94:95], s[14:15], s[8:9]
	s_cmp_lg_u64 s[52:53], 0
	s_cselect_b64 s[8:9], -1, 0
	s_cmp_lg_u32 s47, 0
	s_cselect_b64 s[14:15], -1, 0
	s_and_b64 s[8:9], s[14:15], s[8:9]
	v_writelane_b32 v44, s8, 4
	v_writelane_b32 v44, s9, 5
	s_add_u32 s8, s22, -8
	v_writelane_b32 v44, s8, 6
	s_addc_u32 s8, s33, -1
	v_writelane_b32 v44, s8, 7
	s_add_u32 s8, s30, s10
	s_addc_u32 s9, s31, s11
	v_writelane_b32 v44, s8, 8
	s_add_u32 s8, s8, 24
	v_writelane_b32 v44, s8, 9
	v_writelane_b32 v44, s9, 10
	s_addc_u32 s8, s9, 0
	v_writelane_b32 v44, s8, 11
	v_cmp_gt_i32_e64 s[8:9], s46, v0
	v_writelane_b32 v44, s8, 12
	v_writelane_b32 v44, s9, 13
	v_cmp_gt_i32_e64 s[8:9], s47, v0
	v_writelane_b32 v44, s8, 14
	v_writelane_b32 v44, s9, 15
	s_load_dword s8, s[4:5], 0x78
	s_load_dwordx2 s[14:15], s[4:5], 0x80
	s_add_u32 s10, s40, -8
	s_load_dword s60, s[4:5], 0xb0
	s_load_dword s9, s[4:5], 0xcc
	s_addc_u32 s11, s41, -1
	v_mov_b32_e32 v2, s33
	s_waitcnt lgkmcnt(0)
	v_writelane_b32 v44, s14, 16
	v_add_co_u32_e32 v19, vcc, s22, v18
	v_writelane_b32 v44, s15, 17
	v_addc_co_u32_e32 v20, vcc, 0, v2, vcc
	v_writelane_b32 v44, s10, 18
	s_add_u32 s4, s10, s12
	s_movk_i32 s0, 0x80
	v_mov_b32_e32 v2, s50
	v_add_co_u32_e32 v21, vcc, s44, v18
	v_writelane_b32 v44, s4, 19
	s_mov_b32 s40, 0
	v_cmp_gt_u32_e64 s[0:1], s0, v0
	v_cmp_gt_u32_e64 s[2:3], 64, v0
	v_cmp_eq_u32_e64 s[16:17], 0, v0
	v_cmp_gt_i32_e64 s[92:93], s45, v0
	v_addc_co_u32_e32 v22, vcc, 0, v2, vcc
	v_mov_b32_e32 v6, 0
	v_writelane_b32 v44, s11, 20
	s_addc_u32 s4, s11, s13
	v_add_u32_e32 v24, -1, v23
	v_add_u32_e32 v26, -1, v25
	v_mov_b32_e32 v27, 0x260
	v_mov_b32_e32 v28, 1
	s_brev_b32 s41, 8
	v_writelane_b32 v44, s4, 21
	s_branch .LBB42_11
.LBB42_9:                               ;   in Loop: Header=BB42_11 Depth=1
	s_or_b64 exec, exec, s[12:13]
.LBB42_10:                              ;   in Loop: Header=BB42_11 Depth=1
	s_add_i32 s7, s9, s7
	v_cmp_lt_i32_e32 vcc, s7, v1
	s_cbranch_vccz .LBB42_180
.LBB42_11:                              ; =>This Loop Header: Depth=1
                                        ;     Child Loop BB42_15 Depth 2
                                        ;     Child Loop BB42_40 Depth 2
	;; [unrolled: 1-line block ×5, first 2 shown]
                                        ;       Child Loop BB42_163 Depth 3
                                        ;     Child Loop BB42_169 Depth 2
                                        ;       Child Loop BB42_171 Depth 3
                                        ;     Child Loop BB42_177 Depth 2
                                        ;       Child Loop BB42_179 Depth 3
	s_lshl_b32 s4, s7, 2
	s_ashr_i32 s5, s4, 31
	s_lshl_b64 s[4:5], s[4:5], 2
	s_add_u32 s12, s6, s4
	s_addc_u32 s13, s20, s5
	global_load_dwordx2 v[2:3], v6, s[12:13] offset:4
	s_waitcnt vmcnt(0)
	v_readfirstlane_b32 s66, v2
	v_readfirstlane_b32 s64, v3
	s_cmp_le_i32 s64, s66
	s_cbranch_scc1 .LBB42_10
; %bb.12:                               ;   in Loop: Header=BB42_11 Depth=1
	global_load_dword v2, v6, s[12:13] offset:12
	s_waitcnt vmcnt(0)
	v_cmp_le_i32_e32 vcc, s8, v2
	s_cbranch_vccnz .LBB42_10
; %bb.13:                               ;   in Loop: Header=BB42_11 Depth=1
	s_sub_i32 s62, s64, s66
	s_ashr_i32 s67, s66, 31
	v_cmp_ge_i32_e32 vcc, s62, v0
	v_pk_mov_b32 v[2:3], 0, 0
	s_and_saveexec_b64 s[4:5], vcc
	s_cbranch_execz .LBB42_17
; %bb.14:                               ;   in Loop: Header=BB42_11 Depth=1
	s_lshl_b64 s[10:11], s[66:67], 3
	v_mov_b32_e32 v2, s11
	v_add_co_u32_e32 v4, vcc, s10, v19
	v_addc_co_u32_e32 v5, vcc, v20, v2, vcc
	s_mov_b64 s[14:15], 0
	v_pk_mov_b32 v[2:3], 0, 0
	v_mov_b32_e32 v7, v0
.LBB42_15:                              ;   Parent Loop BB42_11 Depth=1
                                        ; =>  This Inner Loop Header: Depth=2
	global_load_dwordx2 v[8:9], v[4:5], off
	v_add_co_u32_e32 v4, vcc, 0x800, v4
	v_add_u32_e32 v7, 0x100, v7
	v_addc_co_u32_e32 v5, vcc, 0, v5, vcc
	v_cmp_lt_i32_e32 vcc, s62, v7
	s_or_b64 s[14:15], vcc, s[14:15]
	s_waitcnt vmcnt(0)
	v_and_b32_e32 v10, 0x7fffffff, v9
	v_cmp_lt_f64_e64 vcc, v[2:3], |v[8:9]|
	v_cndmask_b32_e32 v3, v3, v10, vcc
	v_cndmask_b32_e32 v2, v2, v8, vcc
	s_andn2_b64 exec, exec, s[14:15]
	s_cbranch_execnz .LBB42_15
; %bb.16:                               ;   in Loop: Header=BB42_11 Depth=1
	s_or_b64 exec, exec, s[14:15]
.LBB42_17:                              ;   in Loop: Header=BB42_11 Depth=1
	s_or_b64 exec, exec, s[4:5]
	s_cmp_lt_i32 s62, 1
	ds_write_b64 v18, v[2:3]
	s_waitcnt lgkmcnt(0)
	s_barrier
	s_cbranch_scc1 .LBB42_38
; %bb.18:                               ;   in Loop: Header=BB42_11 Depth=1
	s_and_saveexec_b64 s[4:5], s[0:1]
	s_cbranch_execz .LBB42_22
; %bb.19:                               ;   in Loop: Header=BB42_11 Depth=1
	ds_read_b64 v[4:5], v18 offset:1024
	s_waitcnt lgkmcnt(0)
	v_cmp_lt_f64_e32 vcc, v[2:3], v[4:5]
	s_and_saveexec_b64 s[14:15], vcc
	s_cbranch_execz .LBB42_21
; %bb.20:                               ;   in Loop: Header=BB42_11 Depth=1
	v_pk_mov_b32 v[2:3], v[4:5], v[4:5] op_sel:[0,1]
	ds_write_b64 v18, v[4:5]
.LBB42_21:                              ;   in Loop: Header=BB42_11 Depth=1
	s_or_b64 exec, exec, s[14:15]
.LBB42_22:                              ;   in Loop: Header=BB42_11 Depth=1
	s_or_b64 exec, exec, s[4:5]
	s_waitcnt lgkmcnt(0)
	s_barrier
	s_and_saveexec_b64 s[4:5], s[2:3]
	s_cbranch_execz .LBB42_37
; %bb.23:                               ;   in Loop: Header=BB42_11 Depth=1
	ds_read_b64 v[4:5], v18 offset:512
	s_waitcnt lgkmcnt(0)
	v_cmp_lt_f64_e32 vcc, v[2:3], v[4:5]
	s_and_saveexec_b64 s[14:15], vcc
	s_cbranch_execz .LBB42_25
; %bb.24:                               ;   in Loop: Header=BB42_11 Depth=1
	v_pk_mov_b32 v[2:3], v[4:5], v[4:5] op_sel:[0,1]
	ds_write_b64 v18, v[4:5]
.LBB42_25:                              ;   in Loop: Header=BB42_11 Depth=1
	s_or_b64 exec, exec, s[14:15]
	ds_read_b64 v[4:5], v18 offset:256
	s_waitcnt lgkmcnt(0)
	v_cmp_lt_f64_e32 vcc, v[2:3], v[4:5]
	s_and_saveexec_b64 s[14:15], vcc
	s_cbranch_execz .LBB42_27
; %bb.26:                               ;   in Loop: Header=BB42_11 Depth=1
	v_pk_mov_b32 v[2:3], v[4:5], v[4:5] op_sel:[0,1]
	ds_write_b64 v18, v[4:5]
.LBB42_27:                              ;   in Loop: Header=BB42_11 Depth=1
	s_or_b64 exec, exec, s[14:15]
	;; [unrolled: 10-line block ×6, first 2 shown]
	ds_read_b64 v[4:5], v18 offset:8
	s_waitcnt lgkmcnt(0)
	v_cmp_lt_f64_e32 vcc, v[2:3], v[4:5]
	s_and_b64 exec, exec, vcc
	s_cbranch_execz .LBB42_37
; %bb.36:                               ;   in Loop: Header=BB42_11 Depth=1
	ds_write_b64 v18, v[4:5]
.LBB42_37:                              ;   in Loop: Header=BB42_11 Depth=1
	s_or_b64 exec, exec, s[4:5]
.LBB42_38:                              ;   in Loop: Header=BB42_11 Depth=1
	v_cmp_gt_i32_e32 vcc, s62, v0
	v_pk_mov_b32 v[2:3], 0, 0
	s_waitcnt lgkmcnt(0)
	s_barrier
	s_and_saveexec_b64 s[4:5], vcc
	s_cbranch_execz .LBB42_42
; %bb.39:                               ;   in Loop: Header=BB42_11 Depth=1
	s_lshl_b64 s[10:11], s[66:67], 3
	v_mov_b32_e32 v2, s11
	v_add_co_u32_e32 v4, vcc, s10, v21
	v_addc_co_u32_e32 v5, vcc, v22, v2, vcc
	s_mov_b64 s[14:15], 0
	v_pk_mov_b32 v[2:3], 0, 0
	v_mov_b32_e32 v7, v0
.LBB42_40:                              ;   Parent Loop BB42_11 Depth=1
                                        ; =>  This Inner Loop Header: Depth=2
	global_load_dwordx2 v[8:9], v[4:5], off
	v_add_co_u32_e32 v4, vcc, 0x800, v4
	v_add_u32_e32 v7, 0x100, v7
	v_addc_co_u32_e32 v5, vcc, 0, v5, vcc
	v_cmp_le_i32_e32 vcc, s62, v7
	s_or_b64 s[14:15], vcc, s[14:15]
	s_waitcnt vmcnt(0)
	v_and_b32_e32 v10, 0x7fffffff, v9
	v_cmp_lt_f64_e64 vcc, v[2:3], |v[8:9]|
	v_cndmask_b32_e32 v3, v3, v10, vcc
	v_cndmask_b32_e32 v2, v2, v8, vcc
	s_andn2_b64 exec, exec, s[14:15]
	s_cbranch_execnz .LBB42_40
; %bb.41:                               ;   in Loop: Header=BB42_11 Depth=1
	s_or_b64 exec, exec, s[14:15]
.LBB42_42:                              ;   in Loop: Header=BB42_11 Depth=1
	s_or_b64 exec, exec, s[4:5]
	s_cmp_lt_i32 s62, 2
	ds_write_b64 v18, v[2:3] offset:8
	s_waitcnt lgkmcnt(0)
	s_barrier
	s_cbranch_scc1 .LBB42_63
; %bb.43:                               ;   in Loop: Header=BB42_11 Depth=1
	s_and_saveexec_b64 s[4:5], s[0:1]
	s_cbranch_execz .LBB42_47
; %bb.44:                               ;   in Loop: Header=BB42_11 Depth=1
	ds_read_b64 v[4:5], v18 offset:1032
	s_waitcnt lgkmcnt(0)
	v_cmp_lt_f64_e32 vcc, v[2:3], v[4:5]
	s_and_saveexec_b64 s[14:15], vcc
	s_cbranch_execz .LBB42_46
; %bb.45:                               ;   in Loop: Header=BB42_11 Depth=1
	v_pk_mov_b32 v[2:3], v[4:5], v[4:5] op_sel:[0,1]
	ds_write_b64 v18, v[4:5] offset:8
.LBB42_46:                              ;   in Loop: Header=BB42_11 Depth=1
	s_or_b64 exec, exec, s[14:15]
.LBB42_47:                              ;   in Loop: Header=BB42_11 Depth=1
	s_or_b64 exec, exec, s[4:5]
	s_waitcnt lgkmcnt(0)
	s_barrier
	s_and_saveexec_b64 s[4:5], s[2:3]
	s_cbranch_execz .LBB42_62
; %bb.48:                               ;   in Loop: Header=BB42_11 Depth=1
	ds_read_b64 v[4:5], v18 offset:520
	s_waitcnt lgkmcnt(0)
	v_cmp_lt_f64_e32 vcc, v[2:3], v[4:5]
	s_and_saveexec_b64 s[14:15], vcc
	s_cbranch_execz .LBB42_50
; %bb.49:                               ;   in Loop: Header=BB42_11 Depth=1
	v_pk_mov_b32 v[2:3], v[4:5], v[4:5] op_sel:[0,1]
	ds_write_b64 v18, v[4:5] offset:8
.LBB42_50:                              ;   in Loop: Header=BB42_11 Depth=1
	s_or_b64 exec, exec, s[14:15]
	ds_read_b64 v[4:5], v18 offset:264
	s_waitcnt lgkmcnt(0)
	v_cmp_lt_f64_e32 vcc, v[2:3], v[4:5]
	s_and_saveexec_b64 s[14:15], vcc
	s_cbranch_execz .LBB42_52
; %bb.51:                               ;   in Loop: Header=BB42_11 Depth=1
	v_pk_mov_b32 v[2:3], v[4:5], v[4:5] op_sel:[0,1]
	ds_write_b64 v18, v[4:5] offset:8
.LBB42_52:                              ;   in Loop: Header=BB42_11 Depth=1
	s_or_b64 exec, exec, s[14:15]
	;; [unrolled: 10-line block ×6, first 2 shown]
	ds_read_b64 v[4:5], v18 offset:16
	s_waitcnt lgkmcnt(0)
	v_cmp_lt_f64_e32 vcc, v[2:3], v[4:5]
	s_and_b64 exec, exec, vcc
	s_cbranch_execz .LBB42_62
; %bb.61:                               ;   in Loop: Header=BB42_11 Depth=1
	ds_write_b64 v18, v[4:5] offset:8
.LBB42_62:                              ;   in Loop: Header=BB42_11 Depth=1
	s_or_b64 exec, exec, s[4:5]
.LBB42_63:                              ;   in Loop: Header=BB42_11 Depth=1
	s_lshl_b64 s[68:69], s[66:67], 3
	s_add_u32 s10, s44, s68
	s_addc_u32 s11, s50, s69
	s_add_u32 s14, s22, s68
	s_addc_u32 s15, s33, s69
	s_waitcnt lgkmcnt(0)
	s_barrier
	s_and_saveexec_b64 s[70:71], s[16:17]
	s_cbranch_execz .LBB42_78
; %bb.64:                               ;   in Loop: Header=BB42_11 Depth=1
	s_ashr_i32 s65, s64, 31
	s_lshl_b64 s[4:5], s[64:65], 3
	s_add_u32 s4, s22, s4
	s_addc_u32 s5, s33, s5
	global_load_dwordx2 v[2:3], v6, s[14:15]
	global_load_dwordx2 v[4:5], v6, s[4:5]
	s_ashr_i32 s63, s62, 31
	s_lshl_b64 s[4:5], s[62:63], 3
	s_add_u32 s21, s14, s4
	s_addc_u32 s28, s15, s5
	s_waitcnt vmcnt(0)
	v_cmp_ge_f64_e64 s[4:5], |v[2:3]|, |v[4:5]|
	s_and_b64 s[18:19], s[4:5], exec
	s_cselect_b32 s19, s15, s28
	s_cselect_b32 s18, s14, s21
	global_load_dwordx2 v[8:9], v6, s[18:19]
	v_cndmask_b32_e64 v7, 0, 1, s[4:5]
	s_cmp_lt_i32 s62, 1
	ds_write_b32 v6, v7 offset:2064
	s_waitcnt vmcnt(0)
	v_and_b32_e32 v9, 0x7fffffff, v9
	s_cbranch_scc1 .LBB42_71
; %bb.65:                               ;   in Loop: Header=BB42_11 Depth=1
	s_not_b32 s18, s66
	s_add_i32 s18, s18, s64
	s_mov_b32 s19, 0
	v_pk_mov_b32 v[10:11], v[8:9], v[8:9] op_sel:[0,1]
	s_branch .LBB42_67
.LBB42_66:                              ;   in Loop: Header=BB42_67 Depth=2
	s_add_i32 s19, s19, 1
	s_and_b64 s[28:29], s[4:5], exec
	s_cselect_b32 s28, s19, s18
	s_ashr_i32 s29, s28, 31
	s_lshl_b64 s[28:29], s[28:29], 3
	s_add_u32 s28, s14, s28
	s_addc_u32 s29, s15, s29
	global_load_dwordx2 v[14:15], v6, s[28:29]
	v_add_f64 v[12:13], v[10:11], |v[12:13]|
	v_div_scale_f64 v[16:17], s[28:29], v[12:13], v[12:13], v[10:11]
	v_rcp_f64_e32 v[30:31], v[16:17]
	v_div_scale_f64 v[32:33], vcc, v[10:11], v[12:13], v[10:11]
	s_add_i32 s18, s18, -1
	v_fma_f64 v[34:35], -v[16:17], v[30:31], 1.0
	v_fmac_f64_e32 v[30:31], v[30:31], v[34:35]
	v_fma_f64 v[34:35], -v[16:17], v[30:31], 1.0
	v_fmac_f64_e32 v[30:31], v[30:31], v[34:35]
	v_mul_f64 v[34:35], v[32:33], v[30:31]
	v_fma_f64 v[16:17], -v[16:17], v[34:35], v[32:33]
	v_div_fmas_f64 v[16:17], v[16:17], v[30:31], v[34:35]
	v_div_fixup_f64 v[10:11], v[16:17], v[12:13], v[10:11]
	s_cmp_eq_u32 s18, -1
	s_mov_b64 s[38:39], 0
	s_cselect_b64 s[72:73], -1, 0
	s_waitcnt vmcnt(0)
	v_mul_f64 v[10:11], v[10:11], |v[14:15]|
	v_cmp_lt_f64_e32 vcc, v[10:11], v[8:9]
	v_cndmask_b32_e32 v9, v9, v11, vcc
	v_cndmask_b32_e32 v8, v8, v10, vcc
	s_andn2_b64 vcc, exec, s[72:73]
	s_cbranch_vccz .LBB42_69
.LBB42_67:                              ;   Parent Loop BB42_11 Depth=1
                                        ; =>  This Inner Loop Header: Depth=2
	s_and_b64 s[28:29], s[4:5], exec
	s_cselect_b32 s28, s19, s18
	s_ashr_i32 s29, s28, 31
	s_lshl_b64 s[28:29], s[28:29], 3
	s_add_u32 s30, s10, s28
	s_addc_u32 s31, s11, s29
	global_load_dwordx2 v[12:13], v6, s[30:31]
	v_mul_f64 v[14:15], v[10:11], s[24:25]
	s_waitcnt vmcnt(0)
	v_cmp_nle_f64_e64 s[28:29], |v[12:13]|, v[14:15]
	s_and_b64 vcc, exec, s[28:29]
	s_cbranch_vccnz .LBB42_66
; %bb.68:                               ;   in Loop: Header=BB42_11 Depth=1
	s_mov_b64 s[38:39], -1
                                        ; implicit-def: $vgpr10_vgpr11
                                        ; implicit-def: $sgpr18
                                        ; implicit-def: $sgpr19
                                        ; implicit-def: $vgpr8_vgpr9
.LBB42_69:                              ;   in Loop: Header=BB42_11 Depth=1
	s_and_b64 vcc, exec, s[38:39]
	s_cbranch_vccz .LBB42_71
; %bb.70:                               ;   in Loop: Header=BB42_11 Depth=1
	v_mov_b32_e32 v8, 0
	v_mov_b32_e32 v7, v6
	;; [unrolled: 1-line block ×3, first 2 shown]
	global_store_dwordx2 v6, v[6:7], s[30:31]
.LBB42_71:                              ;   in Loop: Header=BB42_11 Depth=1
	v_cmp_nle_f64_e32 vcc, 0, v[8:9]
	v_and_b32_e32 v3, 0x7fffffff, v3
	v_and_b32_e32 v5, 0x7fffffff, v5
	ds_write_b64 v6, v[8:9] offset:2056
	ds_write_b8 v6, v6 offset:2068
	s_cbranch_vccnz .LBB42_78
; %bb.72:                               ;   in Loop: Header=BB42_11 Depth=1
	ds_read_b128 v[10:13], v6
	s_mov_b64 s[30:31], -1
	s_waitcnt lgkmcnt(0)
	v_cmp_lt_f64_e32 vcc, v[10:11], v[12:13]
	v_cndmask_b32_e32 v11, v11, v13, vcc
	v_cndmask_b32_e32 v10, v10, v12, vcc
	v_div_scale_f64 v[12:13], s[18:19], v[10:11], v[10:11], v[8:9]
	v_rcp_f64_e32 v[14:15], v[12:13]
	v_div_scale_f64 v[16:17], vcc, v[8:9], v[10:11], v[8:9]
	v_fma_f64 v[30:31], -v[12:13], v[14:15], 1.0
	v_fmac_f64_e32 v[14:15], v[14:15], v[30:31]
	v_fma_f64 v[30:31], -v[12:13], v[14:15], 1.0
	v_fmac_f64_e32 v[14:15], v[14:15], v[30:31]
	v_mul_f64 v[30:31], v[16:17], v[14:15]
	v_fma_f64 v[12:13], -v[12:13], v[30:31], v[16:17]
	v_div_fmas_f64 v[12:13], v[12:13], v[14:15], v[30:31]
	v_div_fixup_f64 v[10:11], v[12:13], v[10:11], v[8:9]
	v_cmp_ge_f64_e32 vcc, s[26:27], v[10:11]
	s_cbranch_vccnz .LBB42_75
; %bb.73:                               ;   in Loop: Header=BB42_11 Depth=1
	v_cndmask_b32_e64 v3, v5, v3, s[4:5]
	v_cndmask_b32_e64 v2, v4, v2, s[4:5]
	v_cmp_lt_f64_e32 vcc, 0, v[2:3]
	s_mov_b64 s[30:31], 0
	s_cbranch_vccz .LBB42_75
; %bb.74:                               ;   in Loop: Header=BB42_11 Depth=1
	v_mul_f64 v[4:5], v[8:9], v[8:9]
	v_div_scale_f64 v[8:9], s[4:5], v[2:3], v[2:3], v[4:5]
	v_rcp_f64_e32 v[10:11], v[8:9]
	v_div_scale_f64 v[12:13], vcc, v[4:5], v[2:3], v[4:5]
	v_fma_f64 v[14:15], -v[8:9], v[10:11], 1.0
	v_fmac_f64_e32 v[10:11], v[10:11], v[14:15]
	v_fma_f64 v[14:15], -v[8:9], v[10:11], 1.0
	v_fmac_f64_e32 v[10:11], v[10:11], v[14:15]
	v_mul_f64 v[14:15], v[12:13], v[10:11]
	v_fma_f64 v[8:9], -v[8:9], v[14:15], v[12:13]
	v_div_fmas_f64 v[8:9], v[8:9], v[10:11], v[14:15]
	v_div_fixup_f64 v[4:5], v[8:9], v[2:3], v[4:5]
	v_div_scale_f64 v[8:9], s[4:5], v[2:3], v[2:3], v[4:5]
	v_rcp_f64_e32 v[10:11], v[8:9]
	v_readlane_b32 s4, v44, 16
	v_readlane_b32 s5, v44, 17
	v_fma_f64 v[12:13], -v[8:9], v[10:11], 1.0
	v_fmac_f64_e32 v[10:11], v[10:11], v[12:13]
	v_fma_f64 v[12:13], -v[8:9], v[10:11], 1.0
	v_fmac_f64_e32 v[10:11], v[10:11], v[12:13]
	v_div_scale_f64 v[12:13], vcc, v[4:5], v[2:3], v[4:5]
	v_mul_f64 v[14:15], v[12:13], v[10:11]
	v_fma_f64 v[8:9], -v[8:9], v[14:15], v[12:13]
	s_nop 1
	v_div_fmas_f64 v[8:9], v[8:9], v[10:11], v[14:15]
	v_div_fixup_f64 v[2:3], v[8:9], v[2:3], v[4:5]
	v_cmp_gt_f64_e64 s[30:31], s[4:5], v[2:3]
.LBB42_75:                              ;   in Loop: Header=BB42_11 Depth=1
	s_and_b64 vcc, exec, s[30:31]
	s_cbranch_vccz .LBB42_77
; %bb.76:                               ;   in Loop: Header=BB42_11 Depth=1
	v_mov_b32_e32 v7, v6
	ds_write_b64 v6, v[6:7] offset:2056
.LBB42_77:                              ;   in Loop: Header=BB42_11 Depth=1
	ds_write_b8 v6, v28 offset:2068
.LBB42_78:                              ;   in Loop: Header=BB42_11 Depth=1
	s_or_b64 exec, exec, s[70:71]
	s_waitcnt lgkmcnt(0)
	s_barrier
	ds_read_u8 v2, v6 offset:2068
	s_mov_b64 s[4:5], -1
	s_waitcnt lgkmcnt(0)
	v_cmp_eq_u32_e32 vcc, 0, v2
	s_cbranch_vccz .LBB42_82
; %bb.79:                               ;   in Loop: Header=BB42_11 Depth=1
	s_and_saveexec_b64 s[4:5], s[16:17]
	s_cbranch_execz .LBB42_81
; %bb.80:                               ;   in Loop: Header=BB42_11 Depth=1
	global_store_dword v6, v6, s[12:13]
.LBB42_81:                              ;   in Loop: Header=BB42_11 Depth=1
	s_or_b64 exec, exec, s[4:5]
	s_mov_b64 s[4:5], 0
.LBB42_82:                              ;   in Loop: Header=BB42_11 Depth=1
	s_andn2_b64 vcc, exec, s[4:5]
	s_cbranch_vccnz .LBB42_10
; %bb.83:                               ;   in Loop: Header=BB42_11 Depth=1
	ds_read_b32 v2, v6 offset:2064
	s_waitcnt lgkmcnt(0)
	v_readfirstlane_b32 s70, v2
	s_and_saveexec_b64 s[4:5], s[16:17]
	s_cbranch_execz .LBB42_85
; %bb.84:                               ;   in Loop: Header=BB42_11 Depth=1
	s_cmp_eq_u32 s70, 0
	s_cselect_b32 s18, -1, 1
	v_mov_b32_e32 v2, s18
	global_store_dword v6, v2, s[12:13]
.LBB42_85:                              ;   in Loop: Header=BB42_11 Depth=1
	s_or_b64 exec, exec, s[4:5]
	s_add_i32 s80, s62, 1
	s_mul_i32 s72, s66, s60
	s_sub_i32 s78, 1, s70
	s_ashr_i32 s73, s72, 31
	s_sub_i32 s74, s70, s78
	s_lshl_b32 s12, s80, 1
	s_and_b64 s[4:5], s[36:37], exec
	s_cselect_b32 s63, s12, 0
	s_and_saveexec_b64 s[4:5], s[16:17]
	s_cbranch_execz .LBB42_157
; %bb.86:                               ;   in Loop: Header=BB42_11 Depth=1
	s_cmp_lg_u32 s70, 0
	s_cselect_b64 s[76:77], -1, 0
	s_and_b64 s[12:13], s[76:77], exec
	s_cselect_b32 s86, 0, s62
	s_ashr_i32 s87, s86, 31
	s_lshl_b64 s[12:13], s[86:87], 3
	s_add_u32 s14, s14, s12
	s_addc_u32 s15, s15, s13
	global_load_dwordx2 v[2:3], v6, s[14:15]
	v_pk_mov_b32 v[4:5], 0, 0
	s_waitcnt vmcnt(0)
	v_cmp_eq_f64_e32 vcc, 0, v[2:3]
	s_cbranch_vccnz .LBB42_88
; %bb.87:                               ;   in Loop: Header=BB42_11 Depth=1
	ds_read_b64 v[4:5], v6 offset:2056
	v_cmp_lt_f64_e32 vcc, 0, v[2:3]
	v_cndmask_b32_e64 v7, 0, 1, vcc
	v_cmp_gt_f64_e32 vcc, 0, v[2:3]
	v_subbrev_co_u32_e32 v7, vcc, 0, v7, vcc
	s_waitcnt lgkmcnt(0)
	v_div_scale_f64 v[8:9], s[12:13], v[2:3], v[2:3], v[4:5]
	v_rcp_f64_e32 v[10:11], v[8:9]
	v_add_f64 v[12:13], |v[2:3]|, -v[4:5]
	v_cvt_f64_i32_e32 v[14:15], v7
	v_fma_f64 v[16:17], -v[8:9], v[10:11], 1.0
	v_fmac_f64_e32 v[10:11], v[10:11], v[16:17]
	v_fma_f64 v[16:17], -v[8:9], v[10:11], 1.0
	v_fmac_f64_e32 v[10:11], v[10:11], v[16:17]
	v_div_scale_f64 v[16:17], vcc, v[4:5], v[2:3], v[4:5]
	v_mul_f64 v[30:31], v[16:17], v[10:11]
	v_fma_f64 v[8:9], -v[8:9], v[30:31], v[16:17]
	s_nop 1
	v_div_fmas_f64 v[8:9], v[8:9], v[10:11], v[30:31]
	v_div_fixup_f64 v[4:5], v[8:9], v[2:3], v[4:5]
	v_add_f64 v[4:5], v[4:5], v[14:15]
	v_mul_f64 v[4:5], v[12:13], v[4:5]
.LBB42_88:                              ;   in Loop: Header=BB42_11 Depth=1
	s_cmp_gt_i32 s62, 0
	s_cbranch_scc1 .LBB42_90
; %bb.89:                               ;   in Loop: Header=BB42_11 Depth=1
	s_add_i32 s65, s62, -1
	s_cbranch_execz .LBB42_91
	s_branch .LBB42_156
.LBB42_90:                              ;   in Loop: Header=BB42_11 Depth=1
                                        ; implicit-def: $sgpr65
.LBB42_91:                              ;   in Loop: Header=BB42_11 Depth=1
	s_ashr_i32 s71, s70, 31
	s_sub_u32 s21, 0, s70
	s_subb_u32 s28, 0, s71
	s_add_u32 s82, s86, s70
	s_addc_u32 s83, s87, s71
	s_lshl_b64 s[84:85], s[82:83], 3
	s_add_u32 s88, s10, s84
	s_addc_u32 s89, s11, s85
	global_load_dwordx2 v[8:9], v6, s[88:89] offset:-8
	v_writelane_b32 v44, s90, 22
	v_writelane_b32 v44, s91, 23
	v_pk_mov_b32 v[10:11], 0, 0
	v_writelane_b32 v44, s92, 24
	v_writelane_b32 v44, s93, 25
	s_waitcnt vmcnt(0)
	v_cmp_eq_f64_e32 vcc, 0, v[8:9]
	s_cbranch_vccnz .LBB42_95
; %bb.92:                               ;   in Loop: Header=BB42_11 Depth=1
	v_cmp_eq_f64_e32 vcc, 0, v[4:5]
	v_pk_mov_b32 v[12:13], 0, 0
	s_cbranch_vccnz .LBB42_96
; %bb.93:                               ;   in Loop: Header=BB42_11 Depth=1
	v_cmp_gt_f64_e64 s[12:13], |v[8:9]|, |v[4:5]|
	s_and_b64 vcc, exec, s[12:13]
	s_cbranch_vccnz .LBB42_97
; %bb.94:                               ;   in Loop: Header=BB42_11 Depth=1
	v_div_scale_f64 v[10:11], s[12:13], v[4:5], v[4:5], -v[8:9]
	v_rcp_f64_e32 v[12:13], v[10:11]
	v_div_scale_f64 v[14:15], vcc, -v[8:9], v[4:5], -v[8:9]
	v_fma_f64 v[16:17], -v[10:11], v[12:13], 1.0
	v_fmac_f64_e32 v[12:13], v[12:13], v[16:17]
	v_fma_f64 v[16:17], -v[10:11], v[12:13], 1.0
	v_fmac_f64_e32 v[12:13], v[12:13], v[16:17]
	v_mul_f64 v[16:17], v[14:15], v[12:13]
	v_fma_f64 v[10:11], -v[10:11], v[16:17], v[14:15]
	v_div_fmas_f64 v[10:11], v[10:11], v[12:13], v[16:17]
	v_div_fixup_f64 v[10:11], v[10:11], v[4:5], -v[8:9]
	v_fma_f64 v[12:13], v[10:11], v[10:11], 1.0
	v_cmp_gt_f64_e32 vcc, s[40:41], v[12:13]
	v_cndmask_b32_e64 v7, 0, 1, vcc
	v_lshlrev_b32_e32 v7, 8, v7
	v_ldexp_f64 v[12:13], v[12:13], v7
	v_rsq_f64_e32 v[14:15], v[12:13]
	s_and_b64 s[12:13], vcc, exec
	s_cselect_b32 s12, 0xffffff80, 0
	v_cmp_class_f64_e32 vcc, v[12:13], v27
	v_mul_f64 v[16:17], v[12:13], v[14:15]
	v_mul_f64 v[14:15], v[14:15], 0.5
	v_fma_f64 v[30:31], -v[14:15], v[16:17], 0.5
	v_fmac_f64_e32 v[16:17], v[16:17], v[30:31]
	v_fmac_f64_e32 v[14:15], v[14:15], v[30:31]
	v_fma_f64 v[30:31], -v[16:17], v[16:17], v[12:13]
	v_fmac_f64_e32 v[16:17], v[30:31], v[14:15]
	v_fma_f64 v[30:31], -v[16:17], v[16:17], v[12:13]
	v_fmac_f64_e32 v[16:17], v[30:31], v[14:15]
	v_ldexp_f64 v[14:15], v[16:17], s12
	v_cndmask_b32_e32 v13, v15, v13, vcc
	v_cndmask_b32_e32 v12, v14, v12, vcc
	v_div_scale_f64 v[14:15], s[12:13], v[12:13], v[12:13], 1.0
	v_rcp_f64_e32 v[16:17], v[14:15]
	s_mov_b64 s[12:13], 0
	v_fma_f64 v[30:31], -v[14:15], v[16:17], 1.0
	v_fmac_f64_e32 v[16:17], v[16:17], v[30:31]
	v_fma_f64 v[30:31], -v[14:15], v[16:17], 1.0
	v_fmac_f64_e32 v[16:17], v[16:17], v[30:31]
	v_div_scale_f64 v[30:31], vcc, 1.0, v[12:13], 1.0
	v_mul_f64 v[32:33], v[30:31], v[16:17]
	v_fma_f64 v[14:15], -v[14:15], v[32:33], v[30:31]
	s_nop 1
	v_div_fmas_f64 v[14:15], v[14:15], v[16:17], v[32:33]
	v_div_fixup_f64 v[12:13], v[14:15], v[12:13], 1.0
	v_mul_f64 v[10:11], v[10:11], v[12:13]
	s_branch .LBB42_98
.LBB42_95:                              ;   in Loop: Header=BB42_11 Depth=1
	v_mov_b32_e32 v12, 0
	v_mov_b32_e32 v13, 0x3ff00000
	s_branch .LBB42_100
.LBB42_96:                              ;   in Loop: Header=BB42_11 Depth=1
	v_mov_b32_e32 v10, 0
	v_mov_b32_e32 v11, 0x3ff00000
	s_branch .LBB42_100
.LBB42_97:                              ;   in Loop: Header=BB42_11 Depth=1
	s_mov_b64 s[12:13], -1
                                        ; implicit-def: $vgpr12_vgpr13
                                        ; implicit-def: $vgpr10_vgpr11
.LBB42_98:                              ;   in Loop: Header=BB42_11 Depth=1
	s_andn2_b64 vcc, exec, s[12:13]
	s_cbranch_vccnz .LBB42_100
; %bb.99:                               ;   in Loop: Header=BB42_11 Depth=1
	v_div_scale_f64 v[10:11], s[12:13], v[8:9], v[8:9], -v[4:5]
	v_rcp_f64_e32 v[12:13], v[10:11]
	v_div_scale_f64 v[14:15], vcc, -v[4:5], v[8:9], -v[4:5]
	v_fma_f64 v[16:17], -v[10:11], v[12:13], 1.0
	v_fmac_f64_e32 v[12:13], v[12:13], v[16:17]
	v_fma_f64 v[16:17], -v[10:11], v[12:13], 1.0
	v_fmac_f64_e32 v[12:13], v[12:13], v[16:17]
	v_mul_f64 v[16:17], v[14:15], v[12:13]
	v_fma_f64 v[10:11], -v[10:11], v[16:17], v[14:15]
	v_div_fmas_f64 v[10:11], v[10:11], v[12:13], v[16:17]
	v_div_fixup_f64 v[4:5], v[10:11], v[8:9], -v[4:5]
	v_fma_f64 v[10:11], v[4:5], v[4:5], 1.0
	v_cmp_gt_f64_e32 vcc, s[40:41], v[10:11]
	v_cndmask_b32_e64 v7, 0, 1, vcc
	v_lshlrev_b32_e32 v7, 8, v7
	v_ldexp_f64 v[10:11], v[10:11], v7
	v_rsq_f64_e32 v[12:13], v[10:11]
	s_and_b64 s[12:13], vcc, exec
	s_cselect_b32 s12, 0xffffff80, 0
	v_cmp_class_f64_e32 vcc, v[10:11], v27
	v_mul_f64 v[14:15], v[10:11], v[12:13]
	v_mul_f64 v[12:13], v[12:13], 0.5
	v_fma_f64 v[16:17], -v[12:13], v[14:15], 0.5
	v_fmac_f64_e32 v[14:15], v[14:15], v[16:17]
	v_fmac_f64_e32 v[12:13], v[12:13], v[16:17]
	v_fma_f64 v[16:17], -v[14:15], v[14:15], v[10:11]
	v_fmac_f64_e32 v[14:15], v[16:17], v[12:13]
	v_fma_f64 v[16:17], -v[14:15], v[14:15], v[10:11]
	v_fmac_f64_e32 v[14:15], v[16:17], v[12:13]
	v_ldexp_f64 v[12:13], v[14:15], s12
	v_cndmask_b32_e32 v11, v13, v11, vcc
	v_cndmask_b32_e32 v10, v12, v10, vcc
	v_div_scale_f64 v[12:13], s[12:13], v[10:11], v[10:11], 1.0
	v_rcp_f64_e32 v[14:15], v[12:13]
	v_fma_f64 v[16:17], -v[12:13], v[14:15], 1.0
	v_fmac_f64_e32 v[14:15], v[14:15], v[16:17]
	v_fma_f64 v[16:17], -v[12:13], v[14:15], 1.0
	v_fmac_f64_e32 v[14:15], v[14:15], v[16:17]
	v_div_scale_f64 v[16:17], vcc, 1.0, v[10:11], 1.0
	v_mul_f64 v[30:31], v[16:17], v[14:15]
	v_fma_f64 v[12:13], -v[12:13], v[30:31], v[16:17]
	s_nop 1
	v_div_fmas_f64 v[12:13], v[12:13], v[14:15], v[30:31]
	v_div_fixup_f64 v[10:11], v[12:13], v[10:11], 1.0
	v_mul_f64 v[12:13], v[4:5], v[10:11]
.LBB42_100:                             ;   in Loop: Header=BB42_11 Depth=1
	s_lshl_b64 s[90:91], s[72:73], 3
	s_and_b64 s[38:39], s[36:37], s[76:77]
	s_add_u32 s12, s54, s90
	s_addc_u32 s13, s55, s91
	s_add_u32 s18, s12, 32
	s_addc_u32 s19, s13, 0
	s_sub_u32 s92, s70, s21
	s_subb_u32 s93, s71, s28
	v_mul_f64 v[4:5], v[8:9], v[12:13]
	s_lshl_b64 s[12:13], s[92:93], 3
	v_fmac_f64_e32 v[4:5], v[2:3], v[10:11]
	s_add_u32 s30, s14, s12
	global_store_dwordx2 v6, v[4:5], s[88:89] offset:-8
	s_addc_u32 s31, s15, s13
	global_load_dwordx2 v[14:15], v6, s[30:31] offset:-8
	v_cndmask_b32_e64 v4, 0, 1, s[38:39]
	v_writelane_b32 v44, s94, 26
	v_cmp_ne_u32_e64 s[12:13], 1, v4
	s_andn2_b64 vcc, exec, s[38:39]
	v_writelane_b32 v44, s95, 27
	s_waitcnt vmcnt(0)
	v_mul_f64 v[4:5], v[12:13], v[14:15]
	global_store_dwordx2 v6, v[4:5], s[30:31] offset:-8
	s_cbranch_vccnz .LBB42_102
; %bb.101:                              ;   in Loop: Header=BB42_11 Depth=1
	s_add_u32 s28, s18, s84
	s_addc_u32 s29, s19, s85
	s_ashr_i32 s81, s80, 31
	s_lshl_b64 s[38:39], s[80:81], 3
	s_add_u32 s38, s28, s38
	s_addc_u32 s39, s29, s39
	global_store_dwordx2 v6, v[12:13], s[28:29] offset:-8
	global_store_dwordx2 v6, v[10:11], s[38:39] offset:-8
.LBB42_102:                             ;   in Loop: Header=BB42_11 Depth=1
	s_cmp_lg_u32 s70, 1
	s_cselect_b64 s[38:39], -1, 0
	s_cmp_eq_u32 s70, 1
	v_readlane_b32 s42, v44, 2
	s_cselect_b64 s[28:29], -1, 0
	v_readlane_b32 s43, v44, 3
	s_or_b64 s[94:95], s[42:43], s[28:29]
	s_and_b64 vcc, exec, s[94:95]
	s_cbranch_vccnz .LBB42_104
; %bb.103:                              ;   in Loop: Header=BB42_11 Depth=1
	s_ashr_i32 s21, s63, 31
	s_add_u32 s28, s82, s63
	s_addc_u32 s29, s83, s21
	s_lshl_b64 s[28:29], s[28:29], 3
	s_add_u32 s28, s18, s28
	s_addc_u32 s29, s19, s29
	s_ashr_i32 s81, s80, 31
	s_lshl_b64 s[42:43], s[80:81], 3
	s_add_u32 s42, s28, s42
	s_addc_u32 s43, s29, s43
	global_store_dwordx2 v6, v[12:13], s[28:29] offset:-8
	global_store_dwordx2 v6, v[10:11], s[42:43] offset:-8
.LBB42_104:                             ;   in Loop: Header=BB42_11 Depth=1
	v_mul_f64 v[4:5], v[8:9], v[10:11]
	v_fma_f64 v[4:5], v[2:3], v[12:13], -v[4:5]
	v_mul_f64 v[2:3], v[14:15], -v[10:11]
	v_cmp_eq_f64_e32 vcc, 0, v[2:3]
	v_pk_mov_b32 v[10:11], 0, 0
	s_cbranch_vccnz .LBB42_108
; %bb.105:                              ;   in Loop: Header=BB42_11 Depth=1
	v_cmp_eq_f64_e32 vcc, 0, v[4:5]
	s_cbranch_vccnz .LBB42_109
; %bb.106:                              ;   in Loop: Header=BB42_11 Depth=1
	v_cmp_gt_f64_e64 s[28:29], |v[2:3]|, |v[4:5]|
	s_and_b64 vcc, exec, s[28:29]
	s_cbranch_vccnz .LBB42_110
; %bb.107:                              ;   in Loop: Header=BB42_11 Depth=1
	v_div_scale_f64 v[8:9], s[28:29], v[4:5], v[4:5], -v[2:3]
	v_rcp_f64_e32 v[10:11], v[8:9]
	v_div_scale_f64 v[12:13], vcc, -v[2:3], v[4:5], -v[2:3]
	v_fma_f64 v[14:15], -v[8:9], v[10:11], 1.0
	v_fmac_f64_e32 v[10:11], v[10:11], v[14:15]
	v_fma_f64 v[14:15], -v[8:9], v[10:11], 1.0
	v_fmac_f64_e32 v[10:11], v[10:11], v[14:15]
	v_mul_f64 v[14:15], v[12:13], v[10:11]
	v_fma_f64 v[8:9], -v[8:9], v[14:15], v[12:13]
	v_div_fmas_f64 v[8:9], v[8:9], v[10:11], v[14:15]
	v_div_fixup_f64 v[10:11], v[8:9], v[4:5], -v[2:3]
	v_fma_f64 v[8:9], v[10:11], v[10:11], 1.0
	v_cmp_gt_f64_e32 vcc, s[40:41], v[8:9]
	v_cndmask_b32_e64 v7, 0, 1, vcc
	v_lshlrev_b32_e32 v7, 8, v7
	v_ldexp_f64 v[8:9], v[8:9], v7
	v_rsq_f64_e32 v[12:13], v[8:9]
	s_and_b64 s[28:29], vcc, exec
	s_cselect_b32 s21, 0xffffff80, 0
	v_cmp_class_f64_e32 vcc, v[8:9], v27
	v_mul_f64 v[14:15], v[8:9], v[12:13]
	v_mul_f64 v[12:13], v[12:13], 0.5
	v_fma_f64 v[16:17], -v[12:13], v[14:15], 0.5
	v_fmac_f64_e32 v[14:15], v[14:15], v[16:17]
	v_fmac_f64_e32 v[12:13], v[12:13], v[16:17]
	v_fma_f64 v[16:17], -v[14:15], v[14:15], v[8:9]
	v_fmac_f64_e32 v[14:15], v[16:17], v[12:13]
	v_fma_f64 v[16:17], -v[14:15], v[14:15], v[8:9]
	v_fmac_f64_e32 v[14:15], v[16:17], v[12:13]
	v_ldexp_f64 v[12:13], v[14:15], s21
	v_cndmask_b32_e32 v9, v13, v9, vcc
	v_cndmask_b32_e32 v8, v12, v8, vcc
	v_div_scale_f64 v[12:13], s[28:29], v[8:9], v[8:9], 1.0
	v_rcp_f64_e32 v[14:15], v[12:13]
	v_fma_f64 v[16:17], -v[12:13], v[14:15], 1.0
	v_fmac_f64_e32 v[14:15], v[14:15], v[16:17]
	v_fma_f64 v[16:17], -v[12:13], v[14:15], 1.0
	v_fmac_f64_e32 v[14:15], v[14:15], v[16:17]
	v_div_scale_f64 v[16:17], vcc, 1.0, v[8:9], 1.0
	v_mul_f64 v[30:31], v[16:17], v[14:15]
	v_fma_f64 v[12:13], -v[12:13], v[30:31], v[16:17]
	s_nop 1
	v_div_fmas_f64 v[12:13], v[12:13], v[14:15], v[30:31]
	v_div_fixup_f64 v[8:9], v[12:13], v[8:9], 1.0
	v_mul_f64 v[10:11], v[10:11], v[8:9]
	s_mov_b64 vcc, 0
	s_branch .LBB42_111
.LBB42_108:                             ;   in Loop: Header=BB42_11 Depth=1
	v_mov_b32_e32 v8, 0
	v_mov_b32_e32 v9, 0x3ff00000
	s_branch .LBB42_115
.LBB42_109:                             ;   in Loop: Header=BB42_11 Depth=1
                                        ; implicit-def: $vgpr4_vgpr5
                                        ; implicit-def: $vgpr8_vgpr9
                                        ; implicit-def: $vgpr10_vgpr11
	s_cbranch_execnz .LBB42_114
	s_branch .LBB42_115
.LBB42_110:                             ;   in Loop: Header=BB42_11 Depth=1
	s_mov_b64 vcc, -1
                                        ; implicit-def: $vgpr8_vgpr9
                                        ; implicit-def: $vgpr10_vgpr11
.LBB42_111:                             ;   in Loop: Header=BB42_11 Depth=1
	s_andn2_b64 vcc, exec, vcc
	s_cbranch_vccnz .LBB42_113
; %bb.112:                              ;   in Loop: Header=BB42_11 Depth=1
	v_div_scale_f64 v[8:9], s[28:29], v[2:3], v[2:3], -v[4:5]
	v_rcp_f64_e32 v[10:11], v[8:9]
	v_div_scale_f64 v[12:13], vcc, -v[4:5], v[2:3], -v[4:5]
	v_fma_f64 v[14:15], -v[8:9], v[10:11], 1.0
	v_fmac_f64_e32 v[10:11], v[10:11], v[14:15]
	v_fma_f64 v[14:15], -v[8:9], v[10:11], 1.0
	v_fmac_f64_e32 v[10:11], v[10:11], v[14:15]
	v_mul_f64 v[14:15], v[12:13], v[10:11]
	v_fma_f64 v[8:9], -v[8:9], v[14:15], v[12:13]
	v_div_fmas_f64 v[8:9], v[8:9], v[10:11], v[14:15]
	v_div_fixup_f64 v[8:9], v[8:9], v[2:3], -v[4:5]
	v_fma_f64 v[10:11], v[8:9], v[8:9], 1.0
	v_cmp_gt_f64_e32 vcc, s[40:41], v[10:11]
	v_cndmask_b32_e64 v7, 0, 1, vcc
	v_lshlrev_b32_e32 v7, 8, v7
	v_ldexp_f64 v[10:11], v[10:11], v7
	v_rsq_f64_e32 v[12:13], v[10:11]
	s_and_b64 s[28:29], vcc, exec
	s_cselect_b32 s21, 0xffffff80, 0
	v_cmp_class_f64_e32 vcc, v[10:11], v27
	v_mul_f64 v[14:15], v[10:11], v[12:13]
	v_mul_f64 v[12:13], v[12:13], 0.5
	v_fma_f64 v[16:17], -v[12:13], v[14:15], 0.5
	v_fmac_f64_e32 v[14:15], v[14:15], v[16:17]
	v_fmac_f64_e32 v[12:13], v[12:13], v[16:17]
	v_fma_f64 v[16:17], -v[14:15], v[14:15], v[10:11]
	v_fmac_f64_e32 v[14:15], v[16:17], v[12:13]
	v_fma_f64 v[16:17], -v[14:15], v[14:15], v[10:11]
	v_fmac_f64_e32 v[14:15], v[16:17], v[12:13]
	v_ldexp_f64 v[12:13], v[14:15], s21
	v_cndmask_b32_e32 v11, v13, v11, vcc
	v_cndmask_b32_e32 v10, v12, v10, vcc
	v_div_scale_f64 v[12:13], s[28:29], v[10:11], v[10:11], 1.0
	v_rcp_f64_e32 v[14:15], v[12:13]
	v_fma_f64 v[16:17], -v[12:13], v[14:15], 1.0
	v_fmac_f64_e32 v[14:15], v[14:15], v[16:17]
	v_fma_f64 v[16:17], -v[12:13], v[14:15], 1.0
	v_fmac_f64_e32 v[14:15], v[14:15], v[16:17]
	v_div_scale_f64 v[16:17], vcc, 1.0, v[10:11], 1.0
	v_mul_f64 v[30:31], v[16:17], v[14:15]
	v_fma_f64 v[12:13], -v[12:13], v[30:31], v[16:17]
	s_nop 1
	v_div_fmas_f64 v[12:13], v[12:13], v[14:15], v[30:31]
	v_div_fixup_f64 v[10:11], v[12:13], v[10:11], 1.0
	v_mul_f64 v[8:9], v[8:9], v[10:11]
.LBB42_113:                             ;   in Loop: Header=BB42_11 Depth=1
	v_mul_f64 v[12:13], v[2:3], v[10:11]
	v_fma_f64 v[4:5], v[4:5], v[8:9], -v[12:13]
	s_branch .LBB42_115
.LBB42_114:                             ;   in Loop: Header=BB42_11 Depth=1
	v_mov_b32_e32 v10, 0
	v_xor_b32_e32 v5, 0x80000000, v3
	v_mov_b32_e32 v4, v2
	v_pk_mov_b32 v[8:9], 0, 0
	v_mov_b32_e32 v11, 0x3ff00000
.LBB42_115:                             ;   in Loop: Header=BB42_11 Depth=1
	global_store_dwordx2 v6, v[4:5], s[14:15]
	global_load_dwordx2 v[12:13], v6, s[30:31] offset:-8
	s_nop 0
	global_load_dwordx2 v[4:5], v6, s[88:89] offset:-8
	s_cmp_eq_u32 s80, 2
	s_waitcnt vmcnt(1)
	v_mul_f64 v[14:15], v[8:9], v[12:13]
	s_waitcnt vmcnt(0)
	v_fmac_f64_e32 v[14:15], v[10:11], v[4:5]
	global_store_dwordx2 v6, v[14:15], s[30:31] offset:-8
	s_cbranch_scc1 .LBB42_117
; %bb.116:                              ;   in Loop: Header=BB42_11 Depth=1
	s_ashr_i32 s75, s74, 31
	s_lshl_b64 s[14:15], s[74:75], 3
	s_add_u32 s14, s88, s14
	s_addc_u32 s15, s89, s15
	global_load_dwordx2 v[14:15], v6, s[14:15] offset:-8
	s_waitcnt vmcnt(0)
	v_mul_f64 v[2:3], v[14:15], -v[10:11]
	v_mul_f64 v[14:15], v[8:9], v[14:15]
	global_store_dwordx2 v6, v[14:15], s[14:15] offset:-8
.LBB42_117:                             ;   in Loop: Header=BB42_11 Depth=1
	s_and_b64 s[28:29], s[36:37], s[38:39]
	v_cndmask_b32_e64 v7, 0, 1, s[28:29]
	v_cmp_ne_u32_e64 s[14:15], 1, v7
	s_andn2_b64 vcc, exec, s[28:29]
	s_cbranch_vccnz .LBB42_119
; %bb.118:                              ;   in Loop: Header=BB42_11 Depth=1
	s_add_u32 s28, s18, s84
	s_addc_u32 s29, s19, s85
	s_ashr_i32 s81, s80, 31
	s_lshl_b64 s[30:31], s[80:81], 3
	s_add_u32 s30, s28, s30
	s_addc_u32 s31, s29, s31
	global_store_dwordx2 v6, v[8:9], s[28:29] offset:-8
	global_store_dwordx2 v6, v[10:11], s[30:31] offset:-8
.LBB42_119:                             ;   in Loop: Header=BB42_11 Depth=1
	v_readlane_b32 s30, v44, 2
	s_xor_b64 s[28:29], s[76:77], -1
	v_readlane_b32 s31, v44, 3
	s_or_b64 s[30:31], s[30:31], s[28:29]
	s_and_b64 vcc, exec, s[30:31]
	s_cbranch_vccnz .LBB42_121
; %bb.120:                              ;   in Loop: Header=BB42_11 Depth=1
	s_ashr_i32 s21, s63, 31
	s_add_u32 s28, s82, s63
	s_addc_u32 s29, s83, s21
	s_lshl_b64 s[28:29], s[28:29], 3
	s_add_u32 s18, s18, s28
	s_addc_u32 s19, s19, s29
	s_ashr_i32 s81, s80, 31
	s_lshl_b64 s[28:29], s[80:81], 3
	s_add_u32 s28, s18, s28
	s_addc_u32 s29, s19, s29
	global_store_dwordx2 v6, v[8:9], s[18:19] offset:-8
	global_store_dwordx2 v6, v[10:11], s[28:29] offset:-8
.LBB42_121:                             ;   in Loop: Header=BB42_11 Depth=1
	v_mul_f64 v[10:11], v[10:11], v[12:13]
	v_fma_f64 v[4:5], v[8:9], v[4:5], -v[10:11]
	s_cmp_eq_u32 s62, 1
	s_mov_b32 s65, 0
	s_cbranch_scc1 .LBB42_155
; %bb.122:                              ;   in Loop: Header=BB42_11 Depth=1
	v_writelane_b32 v44, s60, 28
	v_writelane_b32 v44, s60, 29
	s_xor_b64 s[82:83], s[94:95], -1
	s_xor_b64 s[84:85], s[30:31], -1
	s_add_i32 s18, s86, s74
	s_add_i32 s65, s62, -1
	s_sub_i32 s30, s86, s78
	s_ashr_i32 s31, s63, 31
	s_ashr_i32 s81, s80, 31
	s_lshl_b64 s[38:39], s[70:71], 4
	v_writelane_b32 v44, s61, 30
	s_add_u32 s60, s38, s68
	s_addc_u32 s61, s39, s69
	s_ashr_i32 s19, s18, 31
	s_lshl_b64 s[18:19], s[18:19], 3
	s_add_u32 s21, s60, s18
	s_addc_u32 s28, s61, s19
	v_readlane_b32 s29, v44, 6
	s_add_u32 s71, s29, s21
	v_readlane_b32 s21, v44, 7
	s_addc_u32 s75, s21, s28
	s_lshl_b32 s21, s70, 1
	s_add_i32 s28, s21, -2
	s_ashr_i32 s29, s28, 31
	s_lshl_b64 s[86:87], s[28:29], 3
	s_or_b32 s86, s86, 8
	s_add_u32 s18, s68, s18
	s_addc_u32 s19, s69, s19
	s_add_u32 s95, s22, s18
	s_addc_u32 s21, s33, s19
	;; [unrolled: 2-line block ×3, first 2 shown]
	s_ashr_i32 s31, s30, 31
	s_add_u32 s18, s18, s30
	s_addc_u32 s19, s19, s31
	s_lshl_b64 s[18:19], s[18:19], 3
	s_add_u32 s28, s18, s90
	s_addc_u32 s29, s19, s91
	s_lshl_b64 s[18:19], s[80:81], 3
	s_add_u32 s42, s28, s18
	s_addc_u32 s43, s29, s19
	v_readlane_b32 s58, v44, 9
	s_add_u32 s92, s58, s42
	v_readlane_b32 s59, v44, 11
	s_addc_u32 s93, s59, s43
	s_add_u32 s28, s58, s28
	s_addc_u32 s29, s59, s29
	s_add_u32 s42, s38, s90
	s_addc_u32 s43, s39, s91
	s_lshl_b64 s[38:39], s[30:31], 3
	s_add_u32 s42, s42, s38
	s_addc_u32 s43, s43, s39
	s_add_u32 s18, s42, s18
	s_addc_u32 s19, s43, s19
	;; [unrolled: 2-line block ×4, first 2 shown]
	v_readlane_b32 s18, v44, 0
	v_readlane_b32 s19, v44, 1
	s_add_u32 s18, s18, s66
	s_addc_u32 s19, s19, s67
	s_add_u32 s18, s18, s30
	s_addc_u32 s19, s19, s31
	s_mul_i32 s59, s70, 24
	s_lshl_b64 s[18:19], s[18:19], 3
	s_mul_hi_i32 s58, s70, 24
	s_add_u32 s30, s59, s18
	s_addc_u32 s31, s58, s19
	s_ashr_i32 s79, s78, 31
	s_lshl_b64 s[18:19], s[78:79], 3
	s_sub_u32 s18, s30, s18
	s_subb_u32 s19, s31, s19
	v_readlane_b32 s30, v44, 18
	s_add_u32 s58, s30, s18
	v_readlane_b32 s18, v44, 20
	s_addc_u32 s59, s18, s19
	s_add_u32 s18, s60, s38
	s_addc_u32 s19, s61, s39
	v_readlane_b32 s30, v44, 19
	s_add_u32 s60, s30, s18
	v_readlane_b32 s18, v44, 21
	s_addc_u32 s61, s18, s19
	s_add_u32 s18, s68, s38
	s_addc_u32 s19, s69, s39
	s_add_u32 s18, s44, s18
	s_mov_b32 s94, 1
	s_addc_u32 s19, s50, s19
	s_mov_b64 s[78:79], 0
	s_branch .LBB42_124
.LBB42_123:                             ;   in Loop: Header=BB42_124 Depth=2
	s_add_i32 s94, s94, 1
	s_add_u32 s78, s78, s86
	v_mul_f64 v[10:11], v[10:11], v[12:13]
	s_addc_u32 s79, s79, s87
	s_cmp_eq_u32 s62, s94
	v_fma_f64 v[4:5], v[8:9], v[4:5], -v[10:11]
	s_cbranch_scc1 .LBB42_154
.LBB42_124:                             ;   Parent Loop BB42_11 Depth=1
                                        ; =>  This Inner Loop Header: Depth=2
	v_cmp_eq_f64_e32 vcc, 0, v[2:3]
	v_pk_mov_b32 v[8:9], 0, 0
	s_cbranch_vccnz .LBB42_128
; %bb.125:                              ;   in Loop: Header=BB42_124 Depth=2
	v_cmp_neq_f64_e32 vcc, 0, v[4:5]
	s_cbranch_vccz .LBB42_129
; %bb.126:                              ;   in Loop: Header=BB42_124 Depth=2
	v_cmp_ngt_f64_e64 s[30:31], |v[2:3]|, |v[4:5]|
	s_and_b64 vcc, exec, s[30:31]
	s_cbranch_vccz .LBB42_130
; %bb.127:                              ;   in Loop: Header=BB42_124 Depth=2
	v_div_scale_f64 v[8:9], s[30:31], v[4:5], v[4:5], -v[2:3]
	v_rcp_f64_e32 v[10:11], v[8:9]
	v_div_scale_f64 v[12:13], vcc, -v[2:3], v[4:5], -v[2:3]
	v_fma_f64 v[14:15], -v[8:9], v[10:11], 1.0
	v_fmac_f64_e32 v[10:11], v[10:11], v[14:15]
	v_fma_f64 v[14:15], -v[8:9], v[10:11], 1.0
	v_fmac_f64_e32 v[10:11], v[10:11], v[14:15]
	v_mul_f64 v[14:15], v[12:13], v[10:11]
	v_fma_f64 v[8:9], -v[8:9], v[14:15], v[12:13]
	v_div_fmas_f64 v[8:9], v[8:9], v[10:11], v[14:15]
	v_div_fixup_f64 v[8:9], v[8:9], v[4:5], -v[2:3]
	v_fma_f64 v[10:11], v[8:9], v[8:9], 1.0
	v_cmp_gt_f64_e32 vcc, s[40:41], v[10:11]
	v_cndmask_b32_e64 v7, 0, 1, vcc
	v_lshlrev_b32_e32 v7, 8, v7
	v_ldexp_f64 v[10:11], v[10:11], v7
	v_rsq_f64_e32 v[12:13], v[10:11]
	s_and_b64 s[30:31], vcc, exec
	s_cselect_b32 s30, 0xffffff80, 0
	v_cmp_class_f64_e32 vcc, v[10:11], v27
	v_mul_f64 v[14:15], v[10:11], v[12:13]
	v_mul_f64 v[12:13], v[12:13], 0.5
	v_fma_f64 v[16:17], -v[12:13], v[14:15], 0.5
	v_fmac_f64_e32 v[14:15], v[14:15], v[16:17]
	v_fmac_f64_e32 v[12:13], v[12:13], v[16:17]
	v_fma_f64 v[16:17], -v[14:15], v[14:15], v[10:11]
	v_fmac_f64_e32 v[14:15], v[16:17], v[12:13]
	v_fma_f64 v[16:17], -v[14:15], v[14:15], v[10:11]
	v_fmac_f64_e32 v[14:15], v[16:17], v[12:13]
	v_ldexp_f64 v[12:13], v[14:15], s30
	v_cndmask_b32_e32 v11, v13, v11, vcc
	v_cndmask_b32_e32 v10, v12, v10, vcc
	v_div_scale_f64 v[12:13], s[30:31], v[10:11], v[10:11], 1.0
	v_rcp_f64_e32 v[14:15], v[12:13]
	v_fma_f64 v[16:17], -v[12:13], v[14:15], 1.0
	v_fmac_f64_e32 v[14:15], v[14:15], v[16:17]
	v_fma_f64 v[16:17], -v[12:13], v[14:15], 1.0
	v_fmac_f64_e32 v[14:15], v[14:15], v[16:17]
	v_div_scale_f64 v[16:17], vcc, 1.0, v[10:11], 1.0
	v_mul_f64 v[30:31], v[16:17], v[14:15]
	v_fma_f64 v[12:13], -v[12:13], v[30:31], v[16:17]
	s_nop 1
	v_div_fmas_f64 v[12:13], v[12:13], v[14:15], v[30:31]
	v_div_fixup_f64 v[10:11], v[12:13], v[10:11], 1.0
	v_mul_f64 v[8:9], v[8:9], v[10:11]
	s_cbranch_execz .LBB42_131
	s_branch .LBB42_132
.LBB42_128:                             ;   in Loop: Header=BB42_124 Depth=2
	v_mov_b32_e32 v10, 0
	v_mov_b32_e32 v11, 0x3ff00000
	s_branch .LBB42_134
.LBB42_129:                             ;   in Loop: Header=BB42_124 Depth=2
                                        ; implicit-def: $vgpr4_vgpr5
                                        ; implicit-def: $vgpr10_vgpr11
                                        ; implicit-def: $vgpr8_vgpr9
	s_cbranch_execnz .LBB42_133
	s_branch .LBB42_134
.LBB42_130:                             ;   in Loop: Header=BB42_124 Depth=2
                                        ; implicit-def: $vgpr10_vgpr11
                                        ; implicit-def: $vgpr8_vgpr9
.LBB42_131:                             ;   in Loop: Header=BB42_124 Depth=2
	v_div_scale_f64 v[8:9], s[30:31], v[2:3], v[2:3], -v[4:5]
	v_rcp_f64_e32 v[10:11], v[8:9]
	v_div_scale_f64 v[12:13], vcc, -v[4:5], v[2:3], -v[4:5]
	v_fma_f64 v[14:15], -v[8:9], v[10:11], 1.0
	v_fmac_f64_e32 v[10:11], v[10:11], v[14:15]
	v_fma_f64 v[14:15], -v[8:9], v[10:11], 1.0
	v_fmac_f64_e32 v[10:11], v[10:11], v[14:15]
	v_mul_f64 v[14:15], v[12:13], v[10:11]
	v_fma_f64 v[8:9], -v[8:9], v[14:15], v[12:13]
	v_div_fmas_f64 v[8:9], v[8:9], v[10:11], v[14:15]
	v_div_fixup_f64 v[10:11], v[8:9], v[2:3], -v[4:5]
	v_fma_f64 v[8:9], v[10:11], v[10:11], 1.0
	v_cmp_gt_f64_e32 vcc, s[40:41], v[8:9]
	v_cndmask_b32_e64 v7, 0, 1, vcc
	v_lshlrev_b32_e32 v7, 8, v7
	v_ldexp_f64 v[8:9], v[8:9], v7
	v_rsq_f64_e32 v[12:13], v[8:9]
	s_and_b64 s[30:31], vcc, exec
	s_cselect_b32 s30, 0xffffff80, 0
	v_cmp_class_f64_e32 vcc, v[8:9], v27
	v_mul_f64 v[14:15], v[8:9], v[12:13]
	v_mul_f64 v[12:13], v[12:13], 0.5
	v_fma_f64 v[16:17], -v[12:13], v[14:15], 0.5
	v_fmac_f64_e32 v[14:15], v[14:15], v[16:17]
	v_fmac_f64_e32 v[12:13], v[12:13], v[16:17]
	v_fma_f64 v[16:17], -v[14:15], v[14:15], v[8:9]
	v_fmac_f64_e32 v[14:15], v[16:17], v[12:13]
	v_fma_f64 v[16:17], -v[14:15], v[14:15], v[8:9]
	v_fmac_f64_e32 v[14:15], v[16:17], v[12:13]
	v_ldexp_f64 v[12:13], v[14:15], s30
	v_cndmask_b32_e32 v9, v13, v9, vcc
	v_cndmask_b32_e32 v8, v12, v8, vcc
	v_div_scale_f64 v[12:13], s[30:31], v[8:9], v[8:9], 1.0
	v_rcp_f64_e32 v[14:15], v[12:13]
	v_fma_f64 v[16:17], -v[12:13], v[14:15], 1.0
	v_fmac_f64_e32 v[14:15], v[14:15], v[16:17]
	v_fma_f64 v[16:17], -v[12:13], v[14:15], 1.0
	v_fmac_f64_e32 v[14:15], v[14:15], v[16:17]
	v_div_scale_f64 v[16:17], vcc, 1.0, v[8:9], 1.0
	v_mul_f64 v[30:31], v[16:17], v[14:15]
	v_fma_f64 v[12:13], -v[12:13], v[30:31], v[16:17]
	s_nop 1
	v_div_fmas_f64 v[12:13], v[12:13], v[14:15], v[30:31]
	v_div_fixup_f64 v[8:9], v[12:13], v[8:9], 1.0
	v_mul_f64 v[10:11], v[10:11], v[8:9]
.LBB42_132:                             ;   in Loop: Header=BB42_124 Depth=2
	v_mul_f64 v[12:13], v[2:3], v[8:9]
	v_fma_f64 v[4:5], v[4:5], v[10:11], -v[12:13]
	s_branch .LBB42_134
.LBB42_133:                             ;   in Loop: Header=BB42_124 Depth=2
	v_xor_b32_e32 v3, 0x80000000, v3
	v_mov_b32_e32 v8, 0
	v_pk_mov_b32 v[10:11], 0, 0
	v_mov_b32_e32 v9, 0x3ff00000
	v_pk_mov_b32 v[4:5], v[2:3], v[2:3] op_sel:[0,1]
.LBB42_134:                             ;   in Loop: Header=BB42_124 Depth=2
	s_add_u32 s30, s18, s78
	s_addc_u32 s31, s19, s79
	global_store_dwordx2 v6, v[4:5], s[30:31]
	s_add_u32 s30, s95, s78
	s_addc_u32 s31, s21, s79
	s_add_u32 s38, s60, s78
	s_addc_u32 s39, s61, s79
	global_load_dwordx2 v[4:5], v6, s[38:39]
	global_load_dwordx2 v[2:3], v6, s[30:31]
	s_add_u32 s80, s71, s78
	s_addc_u32 s81, s75, s79
	s_and_b64 vcc, exec, s[12:13]
	s_waitcnt vmcnt(1)
	v_mul_f64 v[12:13], v[10:11], v[4:5]
	s_waitcnt vmcnt(0)
	v_fmac_f64_e32 v[12:13], v[8:9], v[2:3]
	global_store_dwordx2 v6, v[12:13], s[38:39]
	global_load_dwordx2 v[12:13], v6, s[80:81]
	s_waitcnt vmcnt(0)
	v_mul_f64 v[14:15], v[10:11], v[12:13]
	global_store_dwordx2 v6, v[14:15], s[80:81]
	s_cbranch_vccnz .LBB42_136
; %bb.135:                              ;   in Loop: Header=BB42_124 Depth=2
	s_add_u32 s88, s42, s78
	s_addc_u32 s89, s43, s79
	s_add_u32 vcc_lo, s90, s78
	s_addc_u32 vcc_hi, s91, s79
	global_store_dwordx2 v6, v[10:11], s[88:89]
	global_store_dwordx2 v6, v[8:9], vcc
.LBB42_136:                             ;   in Loop: Header=BB42_124 Depth=2
	s_andn2_b64 vcc, exec, s[82:83]
	s_cbranch_vccnz .LBB42_138
; %bb.137:                              ;   in Loop: Header=BB42_124 Depth=2
	s_add_u32 s88, s28, s78
	s_addc_u32 s89, s29, s79
	s_add_u32 vcc_lo, s92, s78
	s_addc_u32 vcc_hi, s93, s79
	global_store_dwordx2 v6, v[10:11], s[88:89]
	global_store_dwordx2 v6, v[8:9], vcc
.LBB42_138:                             ;   in Loop: Header=BB42_124 Depth=2
	v_mul_f64 v[4:5], v[8:9], v[4:5]
	v_fma_f64 v[4:5], v[10:11], v[2:3], -v[4:5]
	v_mul_f64 v[2:3], v[12:13], -v[8:9]
	v_cmp_eq_f64_e32 vcc, 0, v[2:3]
	v_pk_mov_b32 v[10:11], 0, 0
	s_cbranch_vccnz .LBB42_142
; %bb.139:                              ;   in Loop: Header=BB42_124 Depth=2
	v_cmp_neq_f64_e32 vcc, 0, v[4:5]
	s_cbranch_vccz .LBB42_143
; %bb.140:                              ;   in Loop: Header=BB42_124 Depth=2
	v_cmp_ngt_f64_e64 s[88:89], |v[2:3]|, |v[4:5]|
	s_and_b64 vcc, exec, s[88:89]
	s_cbranch_vccz .LBB42_144
; %bb.141:                              ;   in Loop: Header=BB42_124 Depth=2
	v_div_scale_f64 v[8:9], s[88:89], v[4:5], v[4:5], -v[2:3]
	v_rcp_f64_e32 v[10:11], v[8:9]
	v_div_scale_f64 v[12:13], vcc, -v[2:3], v[4:5], -v[2:3]
	v_fma_f64 v[14:15], -v[8:9], v[10:11], 1.0
	v_fmac_f64_e32 v[10:11], v[10:11], v[14:15]
	v_fma_f64 v[14:15], -v[8:9], v[10:11], 1.0
	v_fmac_f64_e32 v[10:11], v[10:11], v[14:15]
	v_mul_f64 v[14:15], v[12:13], v[10:11]
	v_fma_f64 v[8:9], -v[8:9], v[14:15], v[12:13]
	v_div_fmas_f64 v[8:9], v[8:9], v[10:11], v[14:15]
	v_div_fixup_f64 v[10:11], v[8:9], v[4:5], -v[2:3]
	v_fma_f64 v[8:9], v[10:11], v[10:11], 1.0
	v_cmp_gt_f64_e32 vcc, s[40:41], v[8:9]
	v_cndmask_b32_e64 v7, 0, 1, vcc
	v_lshlrev_b32_e32 v7, 8, v7
	v_ldexp_f64 v[8:9], v[8:9], v7
	v_rsq_f64_e32 v[12:13], v[8:9]
	s_and_b64 s[88:89], vcc, exec
	s_cselect_b32 s88, 0xffffff80, 0
	v_cmp_class_f64_e32 vcc, v[8:9], v27
	v_mul_f64 v[14:15], v[8:9], v[12:13]
	v_mul_f64 v[12:13], v[12:13], 0.5
	v_fma_f64 v[16:17], -v[12:13], v[14:15], 0.5
	v_fmac_f64_e32 v[14:15], v[14:15], v[16:17]
	v_fmac_f64_e32 v[12:13], v[12:13], v[16:17]
	v_fma_f64 v[16:17], -v[14:15], v[14:15], v[8:9]
	v_fmac_f64_e32 v[14:15], v[16:17], v[12:13]
	v_fma_f64 v[16:17], -v[14:15], v[14:15], v[8:9]
	v_fmac_f64_e32 v[14:15], v[16:17], v[12:13]
	v_ldexp_f64 v[12:13], v[14:15], s88
	v_cndmask_b32_e32 v9, v13, v9, vcc
	v_cndmask_b32_e32 v8, v12, v8, vcc
	v_div_scale_f64 v[12:13], s[88:89], v[8:9], v[8:9], 1.0
	v_rcp_f64_e32 v[14:15], v[12:13]
	v_fma_f64 v[16:17], -v[12:13], v[14:15], 1.0
	v_fmac_f64_e32 v[14:15], v[14:15], v[16:17]
	v_fma_f64 v[16:17], -v[12:13], v[14:15], 1.0
	v_fmac_f64_e32 v[14:15], v[14:15], v[16:17]
	v_div_scale_f64 v[16:17], vcc, 1.0, v[8:9], 1.0
	v_mul_f64 v[30:31], v[16:17], v[14:15]
	v_fma_f64 v[12:13], -v[12:13], v[30:31], v[16:17]
	s_nop 1
	v_div_fmas_f64 v[12:13], v[12:13], v[14:15], v[30:31]
	v_div_fixup_f64 v[8:9], v[12:13], v[8:9], 1.0
	v_mul_f64 v[10:11], v[10:11], v[8:9]
	s_cbranch_execz .LBB42_145
	s_branch .LBB42_146
.LBB42_142:                             ;   in Loop: Header=BB42_124 Depth=2
	v_mov_b32_e32 v8, 0
	v_mov_b32_e32 v9, 0x3ff00000
	s_branch .LBB42_148
.LBB42_143:                             ;   in Loop: Header=BB42_124 Depth=2
                                        ; implicit-def: $vgpr4_vgpr5
                                        ; implicit-def: $vgpr8_vgpr9
                                        ; implicit-def: $vgpr10_vgpr11
	s_cbranch_execnz .LBB42_147
	s_branch .LBB42_148
.LBB42_144:                             ;   in Loop: Header=BB42_124 Depth=2
                                        ; implicit-def: $vgpr8_vgpr9
                                        ; implicit-def: $vgpr10_vgpr11
.LBB42_145:                             ;   in Loop: Header=BB42_124 Depth=2
	v_div_scale_f64 v[8:9], s[88:89], v[2:3], v[2:3], -v[4:5]
	v_rcp_f64_e32 v[10:11], v[8:9]
	v_div_scale_f64 v[12:13], vcc, -v[4:5], v[2:3], -v[4:5]
	v_fma_f64 v[14:15], -v[8:9], v[10:11], 1.0
	v_fmac_f64_e32 v[10:11], v[10:11], v[14:15]
	v_fma_f64 v[14:15], -v[8:9], v[10:11], 1.0
	v_fmac_f64_e32 v[10:11], v[10:11], v[14:15]
	v_mul_f64 v[14:15], v[12:13], v[10:11]
	v_fma_f64 v[8:9], -v[8:9], v[14:15], v[12:13]
	v_div_fmas_f64 v[8:9], v[8:9], v[10:11], v[14:15]
	v_div_fixup_f64 v[8:9], v[8:9], v[2:3], -v[4:5]
	v_fma_f64 v[10:11], v[8:9], v[8:9], 1.0
	v_cmp_gt_f64_e32 vcc, s[40:41], v[10:11]
	v_cndmask_b32_e64 v7, 0, 1, vcc
	v_lshlrev_b32_e32 v7, 8, v7
	v_ldexp_f64 v[10:11], v[10:11], v7
	v_rsq_f64_e32 v[12:13], v[10:11]
	s_and_b64 s[88:89], vcc, exec
	s_cselect_b32 s88, 0xffffff80, 0
	v_cmp_class_f64_e32 vcc, v[10:11], v27
	v_mul_f64 v[14:15], v[10:11], v[12:13]
	v_mul_f64 v[12:13], v[12:13], 0.5
	v_fma_f64 v[16:17], -v[12:13], v[14:15], 0.5
	v_fmac_f64_e32 v[14:15], v[14:15], v[16:17]
	v_fmac_f64_e32 v[12:13], v[12:13], v[16:17]
	v_fma_f64 v[16:17], -v[14:15], v[14:15], v[10:11]
	v_fmac_f64_e32 v[14:15], v[16:17], v[12:13]
	v_fma_f64 v[16:17], -v[14:15], v[14:15], v[10:11]
	v_fmac_f64_e32 v[14:15], v[16:17], v[12:13]
	v_ldexp_f64 v[12:13], v[14:15], s88
	v_cndmask_b32_e32 v11, v13, v11, vcc
	v_cndmask_b32_e32 v10, v12, v10, vcc
	v_div_scale_f64 v[12:13], s[88:89], v[10:11], v[10:11], 1.0
	v_rcp_f64_e32 v[14:15], v[12:13]
	v_fma_f64 v[16:17], -v[12:13], v[14:15], 1.0
	v_fmac_f64_e32 v[14:15], v[14:15], v[16:17]
	v_fma_f64 v[16:17], -v[12:13], v[14:15], 1.0
	v_fmac_f64_e32 v[14:15], v[14:15], v[16:17]
	v_div_scale_f64 v[16:17], vcc, 1.0, v[10:11], 1.0
	v_mul_f64 v[30:31], v[16:17], v[14:15]
	v_fma_f64 v[12:13], -v[12:13], v[30:31], v[16:17]
	s_nop 1
	v_div_fmas_f64 v[12:13], v[12:13], v[14:15], v[30:31]
	v_div_fixup_f64 v[10:11], v[12:13], v[10:11], 1.0
	v_mul_f64 v[8:9], v[8:9], v[10:11]
.LBB42_146:                             ;   in Loop: Header=BB42_124 Depth=2
	v_mul_f64 v[12:13], v[2:3], v[10:11]
	v_fma_f64 v[4:5], v[4:5], v[8:9], -v[12:13]
	s_branch .LBB42_148
.LBB42_147:                             ;   in Loop: Header=BB42_124 Depth=2
	v_mov_b32_e32 v10, 0
	v_xor_b32_e32 v5, 0x80000000, v3
	v_mov_b32_e32 v4, v2
	v_pk_mov_b32 v[8:9], 0, 0
	v_mov_b32_e32 v11, 0x3ff00000
.LBB42_148:                             ;   in Loop: Header=BB42_124 Depth=2
	global_store_dwordx2 v6, v[4:5], s[30:31]
	global_load_dwordx2 v[12:13], v6, s[80:81]
	s_nop 0
	global_load_dwordx2 v[4:5], v6, s[38:39]
	s_cmp_ge_i32 s94, s65
	s_waitcnt vmcnt(1)
	v_mul_f64 v[14:15], v[8:9], v[12:13]
	s_waitcnt vmcnt(0)
	v_fmac_f64_e32 v[14:15], v[10:11], v[4:5]
	global_store_dwordx2 v6, v[14:15], s[80:81]
	s_cbranch_scc0 .LBB42_151
; %bb.149:                              ;   in Loop: Header=BB42_124 Depth=2
	s_and_b64 vcc, exec, s[14:15]
	s_cbranch_vccz .LBB42_152
.LBB42_150:                             ;   in Loop: Header=BB42_124 Depth=2
	s_andn2_b64 vcc, exec, s[84:85]
	s_cbranch_vccnz .LBB42_123
	s_branch .LBB42_153
.LBB42_151:                             ;   in Loop: Header=BB42_124 Depth=2
	s_add_u32 s30, s58, s78
	s_addc_u32 s31, s59, s79
	global_load_dwordx2 v[14:15], v6, s[30:31]
	s_waitcnt vmcnt(0)
	v_mul_f64 v[2:3], v[14:15], -v[10:11]
	v_mul_f64 v[14:15], v[8:9], v[14:15]
	global_store_dwordx2 v6, v[14:15], s[30:31]
	s_and_b64 vcc, exec, s[14:15]
	s_cbranch_vccnz .LBB42_150
.LBB42_152:                             ;   in Loop: Header=BB42_124 Depth=2
	s_add_u32 s30, s42, s78
	s_addc_u32 s31, s43, s79
	s_add_u32 s38, s90, s78
	s_addc_u32 s39, s91, s79
	global_store_dwordx2 v6, v[8:9], s[30:31]
	global_store_dwordx2 v6, v[10:11], s[38:39]
	s_andn2_b64 vcc, exec, s[84:85]
	s_cbranch_vccnz .LBB42_123
.LBB42_153:                             ;   in Loop: Header=BB42_124 Depth=2
	s_add_u32 s30, s28, s78
	s_addc_u32 s31, s29, s79
	s_add_u32 s38, s92, s78
	s_addc_u32 s39, s93, s79
	global_store_dwordx2 v6, v[8:9], s[30:31]
	global_store_dwordx2 v6, v[10:11], s[38:39]
	s_branch .LBB42_123
.LBB42_154:                             ;   in Loop: Header=BB42_11 Depth=1
	v_readlane_b32 s60, v44, 29
	v_readlane_b32 s61, v44, 30
	;; [unrolled: 1-line block ×3, first 2 shown]
.LBB42_155:                             ;   in Loop: Header=BB42_11 Depth=1
	v_readlane_b32 s90, v44, 22
	v_readlane_b32 s92, v44, 24
	;; [unrolled: 1-line block ×6, first 2 shown]
.LBB42_156:                             ;   in Loop: Header=BB42_11 Depth=1
	s_and_b64 s[12:13], s[76:77], exec
	s_cselect_b32 s12, s65, 0
	s_ashr_i32 s13, s12, 31
	s_lshl_b64 s[12:13], s[12:13], 3
	s_add_u32 s10, s10, s12
	s_addc_u32 s11, s11, s13
	global_store_dwordx2 v6, v[4:5], s[10:11]
.LBB42_157:                             ;   in Loop: Header=BB42_11 Depth=1
	s_or_b64 exec, exec, s[4:5]
	s_andn2_b64 vcc, exec, s[90:91]
	s_barrier
	s_cbranch_vccnz .LBB42_165
; %bb.158:                              ;   in Loop: Header=BB42_11 Depth=1
	s_and_saveexec_b64 s[12:13], s[92:93]
	s_cbranch_execz .LBB42_164
; %bb.159:                              ;   in Loop: Header=BB42_11 Depth=1
	s_lshl_b64 s[4:5], s[66:67], 4
	s_add_u32 s14, s48, s4
	s_addc_u32 s15, s49, s5
	s_load_dword s5, s[56:57], 0xc
	s_add_i32 s4, s62, -1
	s_cmp_eq_u32 s70, 0
	s_cselect_b32 s10, s62, 0
	s_cselect_b32 s4, s4, 0
	s_cmp_gt_i32 s62, 0
	s_cselect_b64 s[30:31], -1, 0
	s_waitcnt lgkmcnt(0)
	s_and_b32 s11, s5, 0xffff
	s_lshl_b32 s5, s70, 1
	s_add_i32 s42, s5, -2
	s_ashr_i32 s43, s42, 31
	s_lshl_b64 s[38:39], s[42:43], 4
	s_ashr_i32 s65, s64, 31
	s_or_b32 s38, s38, 16
	s_not_b64 s[76:77], s[42:43]
	s_add_i32 s5, s5, s10
	s_or_b32 s19, s42, 1
	s_lshl_b64 s[28:29], s[64:65], 3
	v_add_u32_e32 v10, s5, v24
	s_sub_u32 s5, s28, s68
	s_subb_u32 s29, s29, s69
	s_add_u32 s28, s5, 40
	s_addc_u32 s29, s29, 0
	s_ashr_i32 s5, s4, 31
	s_lshl_b64 s[4:5], s[4:5], 3
	s_lshl_b64 s[58:59], s[72:73], 3
	s_add_u32 s4, s4, s58
	s_addc_u32 s5, s5, s59
	v_readlane_b32 s58, v44, 8
	s_add_u32 s78, s58, s4
	v_readlane_b32 s4, v44, 10
	s_addc_u32 s79, s4, s5
	s_lshl_b64 s[80:81], s[42:43], 3
	v_add_u32_e32 v8, s10, v23
	s_mul_i32 s18, s23, s11
	s_mov_b32 s21, s43
	s_or_b32 s80, s80, 8
	s_mov_b64 s[82:83], 0
	v_mov_b32_e32 v7, v0
	s_branch .LBB42_161
.LBB42_160:                             ;   in Loop: Header=BB42_161 Depth=2
	v_lshlrev_b64 v[12:13], 4, v[12:13]
	v_mov_b32_e32 v9, s15
	v_add_co_u32_e32 v12, vcc, s14, v12
	v_addc_co_u32_e32 v13, vcc, v9, v13, vcc
	v_add_u32_e32 v7, s11, v7
	v_cmp_le_i32_e32 vcc, s45, v7
	v_add_u32_e32 v8, s18, v8
	s_or_b64 s[82:83], vcc, s[82:83]
	v_add_u32_e32 v10, s18, v10
	s_waitcnt vmcnt(0) lgkmcnt(0)
	flat_store_dwordx4 v[12:13], v[2:5]
	s_andn2_b64 exec, exec, s[82:83]
	s_cbranch_execz .LBB42_164
.LBB42_161:                             ;   Parent Loop BB42_11 Depth=1
                                        ; =>  This Loop Header: Depth=2
                                        ;       Child Loop BB42_163 Depth 3
	v_mul_lo_u32 v2, v7, s23
	v_add_u32_e32 v12, s10, v2
	v_ashrrev_i32_e32 v13, 31, v12
	v_lshlrev_b64 v[2:3], 4, v[12:13]
	v_mov_b32_e32 v4, s15
	v_add_co_u32_e32 v2, vcc, s14, v2
	v_addc_co_u32_e32 v3, vcc, v4, v3, vcc
	flat_load_dwordx4 v[2:5], v[2:3]
	s_andn2_b64 vcc, exec, s[30:31]
	s_cbranch_vccnz .LBB42_160
; %bb.162:                              ;   in Loop: Header=BB42_161 Depth=2
	v_ashrrev_i32_e32 v9, 31, v8
	v_lshlrev_b64 v[14:15], 4, v[8:9]
	v_ashrrev_i32_e32 v11, 31, v10
	v_mov_b32_e32 v9, s77
	v_add_co_u32_e32 v12, vcc, s76, v10
	v_addc_co_u32_e32 v13, vcc, v9, v11, vcc
	v_lshlrev_b64 v[16:17], 4, v[10:11]
	s_mov_b64 s[84:85], s[78:79]
	s_mov_b64 s[86:87], s[14:15]
	s_mov_b32 s42, s62
.LBB42_163:                             ;   Parent Loop BB42_11 Depth=1
                                        ;     Parent Loop BB42_161 Depth=2
                                        ; =>    This Inner Loop Header: Depth=3
	v_mov_b32_e32 v9, s87
	v_add_co_u32_e32 v30, vcc, s86, v16
	s_add_u32 s4, s84, s28
	v_addc_co_u32_e32 v31, vcc, v9, v17, vcc
	s_addc_u32 s5, s85, s29
	flat_load_dwordx4 v[30:33], v[30:31]
	s_nop 0
	global_load_dwordx2 v[38:39], v6, s[4:5]
	global_load_dwordx2 v[40:41], v6, s[84:85] offset:32
	s_add_i32 s42, s42, -1
	v_add_co_u32_e64 v42, s[4:5], s86, v14
	s_add_u32 s86, s86, s38
	s_addc_u32 s87, s87, s39
	s_add_u32 s84, s84, s80
	v_mov_b32_e32 v11, s21
	v_add_co_u32_e32 v12, vcc, s19, v12
	s_addc_u32 s85, s85, s81
	v_addc_co_u32_e64 v43, s[4:5], v9, v15, s[4:5]
	v_addc_co_u32_e32 v13, vcc, v13, v11, vcc
	s_cmp_eq_u32 s42, 0
	s_waitcnt vmcnt(0) lgkmcnt(0)
	v_mul_f64 v[34:35], v[30:31], v[38:39]
	v_mul_f64 v[36:37], v[32:33], v[38:39]
	v_fma_f64 v[34:35], v[2:3], v[40:41], -v[34:35]
	v_fma_f64 v[36:37], v[4:5], v[40:41], -v[36:37]
	v_mul_f64 v[2:3], v[2:3], v[38:39]
	v_mul_f64 v[4:5], v[4:5], v[38:39]
	v_fmac_f64_e32 v[2:3], v[30:31], v[40:41]
	v_fmac_f64_e32 v[4:5], v[32:33], v[40:41]
	flat_store_dwordx4 v[42:43], v[34:37]
	s_cbranch_scc0 .LBB42_163
	s_branch .LBB42_160
.LBB42_164:                             ;   in Loop: Header=BB42_11 Depth=1
	s_or_b64 exec, exec, s[12:13]
.LBB42_165:                             ;   in Loop: Header=BB42_11 Depth=1
	s_andn2_b64 vcc, exec, s[94:95]
	s_cbranch_vccnz .LBB42_173
; %bb.166:                              ;   in Loop: Header=BB42_11 Depth=1
	s_mov_b64 s[4:5], exec
	v_readlane_b32 s10, v44, 12
	v_readlane_b32 s11, v44, 13
	s_and_b64 s[10:11], s[4:5], s[10:11]
	s_mov_b64 exec, s[10:11]
	s_cbranch_execz .LBB42_172
; %bb.167:                              ;   in Loop: Header=BB42_11 Depth=1
	s_mul_i32 s10, s66, s61
	s_ashr_i32 s11, s10, 31
	s_lshl_b64 s[10:11], s[10:11], 4
	s_add_u32 s10, s34, s10
	s_addc_u32 s11, s35, s11
	s_add_i32 s12, s62, -1
	s_load_dword s15, s[56:57], 0xc
	s_cmp_eq_u32 s70, 0
	s_cselect_b32 s12, s12, 0
	s_cselect_b32 s38, s62, 0
	s_add_i32 s14, s12, s63
	s_cmp_gt_i32 s62, 0
	s_cselect_b64 s[12:13], -1, 0
	s_waitcnt lgkmcnt(0)
	s_and_b32 s19, s15, 0xffff
	s_ashr_i32 s15, s14, 31
	s_lshl_b64 s[28:29], s[72:73], 3
	s_lshl_b64 s[14:15], s[14:15], 3
	s_add_u32 s14, s28, s14
	s_addc_u32 s15, s29, s15
	v_readlane_b32 s21, v44, 8
	s_add_u32 s14, s21, s14
	v_readlane_b32 s21, v44, 10
	s_addc_u32 s15, s21, s15
	s_lshl_b32 s39, s70, 1
	s_add_i32 s28, s39, -2
	s_ashr_i32 s29, s28, 31
	s_lshl_b64 s[30:31], s[28:29], 3
	s_ashr_i32 s65, s64, 31
	s_or_b32 s30, s30, 8
	s_lshl_b64 s[28:29], s[64:65], 3
	s_sub_u32 s21, s28, s68
	s_subb_u32 s28, s29, s69
	s_add_u32 s21, s21, 40
	s_mul_i32 s18, s38, s61
	s_addc_u32 s28, s28, 0
	s_add_i32 s38, s38, s39
	s_add_i32 s38, s38, -1
	s_mul_i32 s38, s61, s38
	v_add_u32_e32 v7, s18, v0
	s_mul_i32 s29, s61, s74
	v_add_u32_e32 v10, s38, v0
	s_mov_b64 s[38:39], 0
	v_mov_b32_e32 v11, v0
	s_branch .LBB42_169
.LBB42_168:                             ;   in Loop: Header=BB42_169 Depth=2
	v_lshlrev_b64 v[8:9], 4, v[8:9]
	v_mov_b32_e32 v12, s11
	v_add_co_u32_e32 v8, vcc, s10, v8
	v_addc_co_u32_e32 v9, vcc, v12, v9, vcc
	v_add_u32_e32 v11, s19, v11
	v_cmp_le_i32_e32 vcc, s46, v11
	v_add_u32_e32 v7, s19, v7
	s_or_b64 s[38:39], vcc, s[38:39]
	v_add_u32_e32 v10, s19, v10
	s_waitcnt vmcnt(0) lgkmcnt(0)
	flat_store_dwordx4 v[8:9], v[2:5]
	s_andn2_b64 exec, exec, s[38:39]
	s_cbranch_execz .LBB42_172
.LBB42_169:                             ;   Parent Loop BB42_11 Depth=1
                                        ; =>  This Loop Header: Depth=2
                                        ;       Child Loop BB42_171 Depth 3
	v_add_u32_e32 v8, s18, v11
	v_ashrrev_i32_e32 v9, 31, v8
	v_lshlrev_b64 v[2:3], 4, v[8:9]
	v_mov_b32_e32 v4, s11
	v_add_co_u32_e32 v2, vcc, s10, v2
	v_addc_co_u32_e32 v3, vcc, v4, v3, vcc
	flat_load_dwordx4 v[2:5], v[2:3]
	s_andn2_b64 vcc, exec, s[12:13]
	s_cbranch_vccnz .LBB42_168
; %bb.170:                              ;   in Loop: Header=BB42_169 Depth=2
	s_mov_b32 s42, 0
	s_mov_b64 s[74:75], s[14:15]
	s_mov_b32 s43, s62
.LBB42_171:                             ;   Parent Loop BB42_11 Depth=1
                                        ;     Parent Loop BB42_169 Depth=2
                                        ; =>    This Inner Loop Header: Depth=3
	v_add_u32_e32 v8, s42, v10
	v_ashrrev_i32_e32 v9, 31, v8
	s_add_u32 s58, s74, s21
	v_lshlrev_b64 v[12:13], 4, v[8:9]
	v_mov_b32_e32 v29, s11
	s_addc_u32 s59, s75, s28
	v_add_co_u32_e32 v12, vcc, s10, v12
	global_load_dwordx2 v[16:17], v6, s[58:59]
	v_addc_co_u32_e32 v13, vcc, v29, v13, vcc
	flat_load_dwordx4 v[12:15], v[12:13]
	s_nop 0
	global_load_dwordx2 v[34:35], v6, s[74:75] offset:32
	v_add_u32_e32 v30, s42, v7
	v_ashrrev_i32_e32 v31, 31, v30
	v_lshlrev_b64 v[30:31], 4, v[30:31]
	s_add_i32 s43, s43, -1
	v_add_co_u32_e32 v36, vcc, s10, v30
	s_add_u32 s74, s74, s30
	v_addc_co_u32_e32 v37, vcc, v29, v31, vcc
	s_addc_u32 s75, s75, s31
	s_add_i32 s42, s42, s29
	s_cmp_eq_u32 s43, 0
	s_waitcnt vmcnt(0) lgkmcnt(0)
	v_mul_f64 v[30:31], v[12:13], v[16:17]
	v_mul_f64 v[32:33], v[14:15], v[16:17]
	v_fma_f64 v[30:31], v[2:3], v[34:35], -v[30:31]
	v_fma_f64 v[32:33], v[4:5], v[34:35], -v[32:33]
	v_mul_f64 v[2:3], v[2:3], v[16:17]
	v_mul_f64 v[4:5], v[4:5], v[16:17]
	v_fmac_f64_e32 v[2:3], v[12:13], v[34:35]
	v_fmac_f64_e32 v[4:5], v[14:15], v[34:35]
	flat_store_dwordx4 v[36:37], v[30:33]
	s_cbranch_scc0 .LBB42_171
	s_branch .LBB42_168
.LBB42_172:                             ;   in Loop: Header=BB42_11 Depth=1
	s_or_b64 exec, exec, s[4:5]
.LBB42_173:                             ;   in Loop: Header=BB42_11 Depth=1
	v_readlane_b32 s4, v44, 4
	v_readlane_b32 s5, v44, 5
	s_andn2_b64 vcc, exec, s[4:5]
	s_cbranch_vccnz .LBB42_10
; %bb.174:                              ;   in Loop: Header=BB42_11 Depth=1
	s_mov_b64 s[12:13], exec
	v_readlane_b32 s4, v44, 14
	v_readlane_b32 s5, v44, 15
	s_and_b64 s[4:5], s[12:13], s[4:5]
	s_mov_b64 exec, s[4:5]
	s_cbranch_execz .LBB42_9
; %bb.175:                              ;   in Loop: Header=BB42_11 Depth=1
	s_lshl_b64 s[4:5], s[66:67], 4
	s_add_u32 s14, s52, s4
	s_addc_u32 s15, s53, s5
	s_add_i32 s4, s62, -1
	s_load_dword s5, s[56:57], 0xc
	s_cmp_eq_u32 s70, 0
	s_cselect_b32 s4, s4, 0
	s_cselect_b32 s10, s62, 0
	s_add_i32 s4, s4, s63
	s_cmp_gt_i32 s62, 0
	s_cselect_b64 s[30:31], -1, 0
	s_waitcnt lgkmcnt(0)
	s_and_b32 s11, s5, 0xffff
	s_ashr_i32 s5, s4, 31
	s_lshl_b64 s[18:19], s[72:73], 3
	s_lshl_b64 s[4:5], s[4:5], 3
	s_add_u32 s4, s18, s4
	s_addc_u32 s5, s19, s5
	v_readlane_b32 s18, v44, 8
	s_add_u32 s38, s18, s4
	v_readlane_b32 s4, v44, 10
	s_addc_u32 s39, s4, s5
	s_lshl_b32 s21, s70, 1
	s_add_i32 s66, s21, -2
	s_ashr_i32 s67, s66, 31
	s_lshl_b64 s[70:71], s[66:67], 3
	s_ashr_i32 s65, s64, 31
	s_or_b32 s70, s70, 8
	s_lshl_b64 s[4:5], s[64:65], 3
	s_sub_u32 s4, s4, s68
	s_subb_u32 s5, s5, s69
	s_add_u32 s18, s4, 40
	s_addc_u32 s19, s5, 0
	s_add_i32 s21, s21, s10
	s_lshl_b64 s[64:65], s[66:67], 4
	v_add_u32_e32 v8, s21, v26
	s_mul_i32 s21, s51, s11
	s_or_b32 s64, s64, 16
	v_add_u32_e32 v10, s10, v25
	s_not_b64 s[68:69], s[66:67]
	s_or_b32 s66, s66, 1
	s_mov_b64 s[72:73], 0
	v_mov_b32_e32 v7, v0
	s_branch .LBB42_177
.LBB42_176:                             ;   in Loop: Header=BB42_177 Depth=2
	v_lshlrev_b64 v[12:13], 4, v[12:13]
	v_mov_b32_e32 v9, s15
	v_add_co_u32_e32 v12, vcc, s14, v12
	v_addc_co_u32_e32 v13, vcc, v9, v13, vcc
	v_add_u32_e32 v7, s11, v7
	v_cmp_le_i32_e32 vcc, s47, v7
	v_add_u32_e32 v8, s21, v8
	s_or_b64 s[72:73], vcc, s[72:73]
	v_add_u32_e32 v10, s21, v10
	s_waitcnt vmcnt(0) lgkmcnt(0)
	flat_store_dwordx4 v[12:13], v[2:5]
	s_andn2_b64 exec, exec, s[72:73]
	s_cbranch_execz .LBB42_9
.LBB42_177:                             ;   Parent Loop BB42_11 Depth=1
                                        ; =>  This Loop Header: Depth=2
                                        ;       Child Loop BB42_179 Depth 3
	v_mul_lo_u32 v2, v7, s51
	v_add_u32_e32 v12, s10, v2
	v_ashrrev_i32_e32 v13, 31, v12
	v_lshlrev_b64 v[2:3], 4, v[12:13]
	v_mov_b32_e32 v4, s15
	v_add_co_u32_e32 v2, vcc, s14, v2
	v_addc_co_u32_e32 v3, vcc, v4, v3, vcc
	flat_load_dwordx4 v[2:5], v[2:3]
	s_andn2_b64 vcc, exec, s[30:31]
	s_cbranch_vccnz .LBB42_176
; %bb.178:                              ;   in Loop: Header=BB42_177 Depth=2
	v_ashrrev_i32_e32 v11, 31, v10
	v_ashrrev_i32_e32 v9, 31, v8
	v_lshlrev_b64 v[16:17], 4, v[10:11]
	v_mov_b32_e32 v11, s69
	v_add_co_u32_e32 v12, vcc, s68, v8
	v_lshlrev_b64 v[14:15], 4, v[8:9]
	v_addc_co_u32_e32 v13, vcc, v11, v9, vcc
	s_mov_b64 s[74:75], s[14:15]
	s_mov_b64 s[76:77], s[38:39]
	s_mov_b32 s28, s62
.LBB42_179:                             ;   Parent Loop BB42_11 Depth=1
                                        ;     Parent Loop BB42_177 Depth=2
                                        ; =>    This Inner Loop Header: Depth=3
	v_mov_b32_e32 v9, s75
	v_add_co_u32_e32 v30, vcc, s74, v14
	s_add_u32 s4, s76, s18
	v_addc_co_u32_e32 v31, vcc, v9, v15, vcc
	s_addc_u32 s5, s77, s19
	flat_load_dwordx4 v[30:33], v[30:31]
	s_nop 0
	global_load_dwordx2 v[38:39], v6, s[4:5]
	global_load_dwordx2 v[40:41], v6, s[76:77] offset:32
	s_add_i32 s28, s28, -1
	s_add_u32 s76, s76, s70
	s_addc_u32 s77, s77, s71
	v_add_co_u32_e64 v42, s[4:5], s74, v16
	s_add_u32 s74, s74, s64
	v_mov_b32_e32 v11, s67
	v_add_co_u32_e32 v12, vcc, s66, v12
	s_addc_u32 s75, s75, s65
	v_addc_co_u32_e64 v43, s[4:5], v9, v17, s[4:5]
	v_addc_co_u32_e32 v13, vcc, v13, v11, vcc
	s_cmp_eq_u32 s28, 0
	s_waitcnt vmcnt(0) lgkmcnt(0)
	v_mul_f64 v[34:35], v[30:31], v[38:39]
	v_mul_f64 v[36:37], v[32:33], v[38:39]
	v_fma_f64 v[34:35], v[2:3], v[40:41], -v[34:35]
	v_fma_f64 v[36:37], v[4:5], v[40:41], -v[36:37]
	v_mul_f64 v[2:3], v[2:3], v[38:39]
	v_mul_f64 v[4:5], v[4:5], v[38:39]
	v_fmac_f64_e32 v[2:3], v[30:31], v[40:41]
	v_fmac_f64_e32 v[4:5], v[32:33], v[40:41]
	flat_store_dwordx4 v[42:43], v[34:37]
	s_cbranch_scc0 .LBB42_179
	s_branch .LBB42_176
.LBB42_180:
	s_endpgm
	.section	.rodata,"a",@progbits
	.p2align	6, 0x0
	.amdhsa_kernel _ZN9rocsolver6v33100L13bdsqr_computeILi256E19rocblas_complex_numIdEdPS3_S4_S4_EEviiiiPT1_lS6_lT2_iilT3_iilT4_iiliS5_S5_S5_S5_PiS6_ilSA_
		.amdhsa_group_segment_fixed_size 2072
		.amdhsa_private_segment_fixed_size 0
		.amdhsa_kernarg_size 456
		.amdhsa_user_sgpr_count 6
		.amdhsa_user_sgpr_private_segment_buffer 1
		.amdhsa_user_sgpr_dispatch_ptr 0
		.amdhsa_user_sgpr_queue_ptr 0
		.amdhsa_user_sgpr_kernarg_segment_ptr 1
		.amdhsa_user_sgpr_dispatch_id 0
		.amdhsa_user_sgpr_flat_scratch_init 0
		.amdhsa_user_sgpr_kernarg_preload_length 0
		.amdhsa_user_sgpr_kernarg_preload_offset 0
		.amdhsa_user_sgpr_private_segment_size 0
		.amdhsa_uses_dynamic_stack 0
		.amdhsa_system_sgpr_private_segment_wavefront_offset 0
		.amdhsa_system_sgpr_workgroup_id_x 1
		.amdhsa_system_sgpr_workgroup_id_y 1
		.amdhsa_system_sgpr_workgroup_id_z 1
		.amdhsa_system_sgpr_workgroup_info 0
		.amdhsa_system_vgpr_workitem_id 0
		.amdhsa_next_free_vgpr 45
		.amdhsa_next_free_sgpr 96
		.amdhsa_accum_offset 48
		.amdhsa_reserve_vcc 1
		.amdhsa_reserve_flat_scratch 0
		.amdhsa_float_round_mode_32 0
		.amdhsa_float_round_mode_16_64 0
		.amdhsa_float_denorm_mode_32 3
		.amdhsa_float_denorm_mode_16_64 3
		.amdhsa_dx10_clamp 1
		.amdhsa_ieee_mode 1
		.amdhsa_fp16_overflow 0
		.amdhsa_tg_split 0
		.amdhsa_exception_fp_ieee_invalid_op 0
		.amdhsa_exception_fp_denorm_src 0
		.amdhsa_exception_fp_ieee_div_zero 0
		.amdhsa_exception_fp_ieee_overflow 0
		.amdhsa_exception_fp_ieee_underflow 0
		.amdhsa_exception_fp_ieee_inexact 0
		.amdhsa_exception_int_div_zero 0
	.end_amdhsa_kernel
	.section	.text._ZN9rocsolver6v33100L13bdsqr_computeILi256E19rocblas_complex_numIdEdPS3_S4_S4_EEviiiiPT1_lS6_lT2_iilT3_iilT4_iiliS5_S5_S5_S5_PiS6_ilSA_,"axG",@progbits,_ZN9rocsolver6v33100L13bdsqr_computeILi256E19rocblas_complex_numIdEdPS3_S4_S4_EEviiiiPT1_lS6_lT2_iilT3_iilT4_iiliS5_S5_S5_S5_PiS6_ilSA_,comdat
.Lfunc_end42:
	.size	_ZN9rocsolver6v33100L13bdsqr_computeILi256E19rocblas_complex_numIdEdPS3_S4_S4_EEviiiiPT1_lS6_lT2_iilT3_iilT4_iiliS5_S5_S5_S5_PiS6_ilSA_, .Lfunc_end42-_ZN9rocsolver6v33100L13bdsqr_computeILi256E19rocblas_complex_numIdEdPS3_S4_S4_EEviiiiPT1_lS6_lT2_iilT3_iilT4_iiliS5_S5_S5_S5_PiS6_ilSA_
                                        ; -- End function
	.section	.AMDGPU.csdata,"",@progbits
; Kernel info:
; codeLenInByte = 9460
; NumSgprs: 100
; NumVgprs: 45
; NumAgprs: 0
; TotalNumVgprs: 45
; ScratchSize: 0
; MemoryBound: 0
; FloatMode: 240
; IeeeMode: 1
; LDSByteSize: 2072 bytes/workgroup (compile time only)
; SGPRBlocks: 12
; VGPRBlocks: 5
; NumSGPRsForWavesPerEU: 100
; NumVGPRsForWavesPerEU: 45
; AccumOffset: 48
; Occupancy: 8
; WaveLimiterHint : 1
; COMPUTE_PGM_RSRC2:SCRATCH_EN: 0
; COMPUTE_PGM_RSRC2:USER_SGPR: 6
; COMPUTE_PGM_RSRC2:TRAP_HANDLER: 0
; COMPUTE_PGM_RSRC2:TGID_X_EN: 1
; COMPUTE_PGM_RSRC2:TGID_Y_EN: 1
; COMPUTE_PGM_RSRC2:TGID_Z_EN: 1
; COMPUTE_PGM_RSRC2:TIDIG_COMP_CNT: 0
; COMPUTE_PGM_RSRC3_GFX90A:ACCUM_OFFSET: 11
; COMPUTE_PGM_RSRC3_GFX90A:TG_SPLIT: 0
	.section	.text._ZN9rocsolver6v33100L12bdsqr_rotateI19rocblas_complex_numIdEdPS3_S4_S4_EEviiiiT1_iilT2_iilT3_iiliPiPT0_ilS8_,"axG",@progbits,_ZN9rocsolver6v33100L12bdsqr_rotateI19rocblas_complex_numIdEdPS3_S4_S4_EEviiiiT1_iilT2_iilT3_iiliPiPT0_ilS8_,comdat
	.globl	_ZN9rocsolver6v33100L12bdsqr_rotateI19rocblas_complex_numIdEdPS3_S4_S4_EEviiiiT1_iilT2_iilT3_iiliPiPT0_ilS8_ ; -- Begin function _ZN9rocsolver6v33100L12bdsqr_rotateI19rocblas_complex_numIdEdPS3_S4_S4_EEviiiiT1_iilT2_iilT3_iiliPiPT0_ilS8_
	.p2align	8
	.type	_ZN9rocsolver6v33100L12bdsqr_rotateI19rocblas_complex_numIdEdPS3_S4_S4_EEviiiiT1_iilT2_iilT3_iiliPiPT0_ilS8_,@function
_ZN9rocsolver6v33100L12bdsqr_rotateI19rocblas_complex_numIdEdPS3_S4_S4_EEviiiiT1_iilT2_iilT3_iiliPiPT0_ilS8_: ; @_ZN9rocsolver6v33100L12bdsqr_rotateI19rocblas_complex_numIdEdPS3_S4_S4_EEviiiiT1_iilT2_iilT3_iiliPiPT0_ilS8_
; %bb.0:
	s_load_dwordx4 s[0:3], s[4:5], 0x78
	s_ashr_i32 s9, s8, 31
	s_lshl_b64 s[10:11], s[8:9], 2
	s_waitcnt lgkmcnt(0)
	s_add_u32 s2, s2, s10
	s_addc_u32 s3, s3, s11
	s_load_dword s2, s[2:3], 0x8
	s_waitcnt lgkmcnt(0)
	s_cmp_lg_u32 s2, 0
	s_cbranch_scc1 .LBB43_25
; %bb.1:
	s_load_dwordx8 s[12:19], s[4:5], 0x10
	s_add_u32 s24, s4, 0x88
	s_addc_u32 s25, s5, 0
	s_mov_b64 s[2:3], 0
	s_mov_b64 s[10:11], 0
	s_waitcnt lgkmcnt(0)
	s_cmp_eq_u64 s[12:13], 0
	s_cbranch_scc1 .LBB43_3
; %bb.2:
	s_ashr_i32 s11, s14, 31
	s_mov_b32 s10, s14
	s_mul_i32 s14, s8, s17
	s_mul_hi_u32 s17, s8, s16
	s_add_i32 s14, s17, s14
	s_mul_i32 s17, s9, s16
	s_add_i32 s17, s14, s17
	s_mul_i32 s16, s8, s16
	s_lshl_b64 s[16:17], s[16:17], 4
	s_add_u32 s12, s12, s16
	s_addc_u32 s13, s13, s17
	s_lshl_b64 s[10:11], s[10:11], 4
	s_add_u32 s10, s12, s10
	s_addc_u32 s11, s13, s11
.LBB43_3:
	s_load_dwordx2 s[12:13], s[4:5], 0x30
	s_load_dwordx4 s[20:23], s[4:5], 0x38
	s_cmp_eq_u64 s[18:19], 0
	s_cbranch_scc1 .LBB43_5
; %bb.4:
	s_waitcnt lgkmcnt(0)
	s_ashr_i32 s3, s12, 31
	s_mov_b32 s2, s12
	s_mul_i32 s12, s8, s21
	s_mul_hi_u32 s14, s8, s20
	s_add_i32 s12, s14, s12
	s_mul_i32 s14, s9, s20
	s_add_i32 s17, s12, s14
	s_mul_i32 s16, s8, s20
	s_lshl_b64 s[16:17], s[16:17], 4
	s_add_u32 s12, s18, s16
	s_addc_u32 s14, s19, s17
	s_lshl_b64 s[2:3], s[2:3], 4
	s_add_u32 s2, s12, s2
	s_addc_u32 s3, s14, s3
.LBB43_5:
	s_load_dwordx2 s[26:27], s[4:5], 0x48
	s_waitcnt lgkmcnt(0)
	s_cmp_eq_u64 s[22:23], 0
	s_mov_b64 s[20:21], 0
	s_cbranch_scc1 .LBB43_7
; %bb.6:
	s_load_dwordx2 s[16:17], s[4:5], 0x50
	s_ashr_i32 s19, s26, 31
	s_mov_b32 s18, s26
	s_waitcnt lgkmcnt(0)
	s_mul_i32 s12, s8, s17
	s_mul_hi_u32 s14, s8, s16
	s_mul_i32 s17, s9, s16
	s_add_i32 s12, s14, s12
	s_add_i32 s17, s12, s17
	s_mul_i32 s16, s8, s16
	s_lshl_b64 s[16:17], s[16:17], 4
	s_add_u32 s12, s22, s16
	s_addc_u32 s14, s23, s17
	s_lshl_b64 s[16:17], s[18:19], 4
	s_add_u32 s20, s12, s16
	s_addc_u32 s21, s14, s17
.LBB43_7:
	s_load_dwordx4 s[16:19], s[4:5], 0x60
	s_mul_i32 s1, s8, s1
	s_mul_hi_u32 s12, s8, s0
	s_add_i32 s1, s12, s1
	s_mul_i32 s9, s9, s0
	s_add_i32 s1, s1, s9
	s_mul_i32 s0, s8, s0
	s_lshl_b64 s[22:23], s[0:1], 3
	s_waitcnt lgkmcnt(0)
	s_add_u32 s0, s18, s22
	s_addc_u32 s1, s19, s23
	s_load_dwordx2 s[0:1], s[0:1], 0x10
	s_waitcnt lgkmcnt(0)
	v_cvt_i32_f64_e32 v8, s[0:1]
	v_cmp_ge_i32_e32 vcc, s7, v8
	s_cbranch_vccnz .LBB43_25
; %bb.8:
	s_load_dwordx4 s[28:31], s[4:5], 0x0
	s_load_dword s12, s[4:5], 0x58
	s_load_dword s9, s[4:5], 0x94
	;; [unrolled: 1-line block ×3, first 2 shown]
	v_mov_b32_e32 v12, 0
	s_waitcnt lgkmcnt(0)
	s_mul_i32 s0, s8, s28
	s_lshl_b32 s0, s0, 1
	s_ashr_i32 s1, s0, 31
	s_lshl_b64 s[0:1], s[0:1], 2
	s_add_u32 s40, s16, s0
	s_addc_u32 s41, s17, s1
	s_and_b32 s0, 0xffff, s9
	s_mul_i32 s6, s6, s0
	s_cmp_eq_u32 s29, 0
	v_add_u32_e32 v9, s6, v0
	s_cselect_b64 s[0:1], -1, 0
	s_cmp_lg_u64 s[10:11], 0
	s_cselect_b64 s[4:5], -1, 0
	v_cmp_gt_i32_e32 vcc, s29, v9
	s_and_b64 s[4:5], vcc, s[4:5]
	s_cmp_lg_u64 s[2:3], 0
	s_cselect_b64 s[8:9], -1, 0
	v_cmp_gt_i32_e32 vcc, s30, v9
	s_and_b64 s[8:9], vcc, s[8:9]
	s_cmp_lg_u64 s[20:21], 0
	s_load_dword s6, s[24:25], 0x4
	v_mul_lo_u32 v10, v9, s15
	s_cselect_b64 s[14:15], -1, 0
	v_cmp_gt_i32_e32 vcc, s31, v9
	s_and_b64 s[14:15], vcc, s[14:15]
	s_add_u32 s42, s18, s22
	v_mul_lo_u32 v11, v9, s27
	s_addc_u32 s43, s19, s23
	s_branch .LBB43_12
.LBB43_9:                               ;   in Loop: Header=BB43_12 Depth=1
	v_mov_b32_e32 v4, s27
	v_subrev_co_u32_e32 v5, vcc, s26, v6
	v_subb_co_u32_e32 v6, vcc, v7, v4, vcc
	v_mov_b32_e32 v7, s19
	v_add_co_u32_e32 v4, vcc, s18, v5
	v_addc_co_u32_e32 v5, vcc, v7, v6, vcc
	flat_store_dwordx4 v[4:5], v[0:3]
.LBB43_10:                              ;   in Loop: Header=BB43_12 Depth=1
	s_or_b64 exec, exec, s[28:29]
.LBB43_11:                              ;   in Loop: Header=BB43_12 Depth=1
	s_add_i32 s7, s6, s7
	v_cmp_lt_i32_e32 vcc, s7, v8
	s_cbranch_vccz .LBB43_25
.LBB43_12:                              ; =>This Loop Header: Depth=1
                                        ;     Child Loop BB43_16 Depth 2
                                        ;     Child Loop BB43_20 Depth 2
	;; [unrolled: 1-line block ×3, first 2 shown]
	s_lshl_b32 s16, s7, 2
	s_ashr_i32 s17, s16, 31
	s_lshl_b64 s[16:17], s[16:17], 2
	s_add_u32 s16, s40, s16
	s_addc_u32 s17, s41, s17
	s_load_dwordx2 s[18:19], s[16:17], 0x0
	s_load_dword s26, s[16:17], 0x8
	s_waitcnt lgkmcnt(0)
	s_cmp_le_i32 s26, s19
	s_cbranch_scc1 .LBB43_11
; %bb.13:                               ;   in Loop: Header=BB43_12 Depth=1
	s_load_dword s16, s[16:17], 0xc
	s_waitcnt lgkmcnt(0)
	s_cmp_lt_i32 s16, s12
	s_cselect_b64 s[16:17], -1, 0
	s_cmp_lg_u32 s18, 0
	s_cselect_b64 s[22:23], -1, 0
	s_and_b64 s[16:17], s[16:17], s[22:23]
	s_andn2_b64 vcc, exec, s[16:17]
	s_cbranch_vccnz .LBB43_11
; %bb.14:                               ;   in Loop: Header=BB43_12 Depth=1
	s_mul_i32 s22, s19, s33
	s_ashr_i32 s23, s22, 31
	s_cmp_gt_i32 s18, 0
	s_cselect_b64 s[24:25], -1, 0
	s_sub_i32 s16, s26, s19
	s_and_saveexec_b64 s[28:29], s[4:5]
	s_cbranch_execz .LBB43_18
; %bb.15:                               ;   in Loop: Header=BB43_12 Depth=1
	s_and_b64 s[30:31], s[24:25], exec
	s_cselect_b32 s17, s19, s26
	v_add_u32_e32 v6, s17, v10
	v_ashrrev_i32_e32 v7, 31, v6
	v_lshlrev_b64 v[4:5], 4, v[6:7]
	v_mov_b32_e32 v1, s11
	v_add_co_u32_e32 v0, vcc, s10, v4
	v_addc_co_u32_e32 v1, vcc, v1, v5, vcc
	flat_load_dwordx4 v[0:3], v[0:1]
	s_add_i32 s17, s16, -1
	s_and_b64 s[30:31], s[24:25], exec
	s_cselect_b32 s34, 0, s17
	s_ashr_i32 s37, s18, 31
	s_mov_b32 s36, s18
	s_ashr_i32 s35, s34, 31
	s_lshl_b64 s[30:31], s[36:37], 4
	s_lshl_b64 s[34:35], s[34:35], 3
	;; [unrolled: 1-line block ×3, first 2 shown]
	s_add_u32 s17, s34, s38
	s_addc_u32 s27, s35, s39
	s_add_u32 s34, s42, s17
	s_addc_u32 s35, s43, s27
	s_ashr_i32 s27, s26, 31
	s_ashr_i32 s45, s19, 31
	s_mov_b32 s44, s19
	s_lshl_b64 s[36:37], s[36:37], 3
	s_lshl_b64 s[38:39], s[26:27], 3
	;; [unrolled: 1-line block ×3, first 2 shown]
	s_sub_u32 s17, s38, s44
	v_add_u32_e32 v6, s18, v6
	s_subb_u32 s27, s39, s45
	v_ashrrev_i32_e32 v7, 31, v6
	s_add_u32 s17, s17, 40
	v_lshlrev_b64 v[6:7], 4, v[6:7]
	s_addc_u32 s27, s27, 0
	s_mov_b32 s44, s16
	s_mov_b64 s[38:39], s[10:11]
.LBB43_16:                              ;   Parent Loop BB43_12 Depth=1
                                        ; =>  This Inner Loop Header: Depth=2
	v_mov_b32_e32 v13, s39
	v_add_co_u32_e32 v14, vcc, s38, v6
	s_add_u32 s46, s34, s17
	v_addc_co_u32_e32 v15, vcc, v13, v7, vcc
	global_load_dwordx2 v[22:23], v12, s[34:35] offset:32
	s_addc_u32 s47, s35, s27
	flat_load_dwordx4 v[14:17], v[14:15]
	s_nop 0
	global_load_dwordx2 v[24:25], v12, s[46:47]
	v_add_co_u32_e32 v26, vcc, s38, v4
	s_add_u32 s38, s38, s30
	s_addc_u32 s39, s39, s31
	s_add_u32 s34, s34, s36
	s_addc_u32 s35, s35, s37
	s_add_i32 s44, s44, -1
	v_addc_co_u32_e32 v27, vcc, v13, v5, vcc
	s_cmp_eq_u32 s44, 0
	s_waitcnt vmcnt(0) lgkmcnt(0)
	v_mul_f64 v[18:19], v[14:15], v[24:25]
	v_mul_f64 v[20:21], v[16:17], v[24:25]
	v_fma_f64 v[18:19], v[0:1], v[22:23], -v[18:19]
	v_fma_f64 v[20:21], v[2:3], v[22:23], -v[20:21]
	v_mul_f64 v[0:1], v[0:1], v[24:25]
	v_mul_f64 v[2:3], v[2:3], v[24:25]
	v_fmac_f64_e32 v[0:1], v[14:15], v[22:23]
	v_fmac_f64_e32 v[2:3], v[16:17], v[22:23]
	flat_store_dwordx4 v[26:27], v[18:21]
	s_cbranch_scc0 .LBB43_16
; %bb.17:                               ;   in Loop: Header=BB43_12 Depth=1
	v_mov_b32_e32 v4, s31
	v_subrev_co_u32_e32 v5, vcc, s30, v6
	v_subb_co_u32_e32 v6, vcc, v7, v4, vcc
	v_mov_b32_e32 v7, s39
	v_add_co_u32_e32 v4, vcc, s38, v5
	v_addc_co_u32_e32 v5, vcc, v7, v6, vcc
	flat_store_dwordx4 v[4:5], v[0:3]
.LBB43_18:                              ;   in Loop: Header=BB43_12 Depth=1
	s_or_b64 exec, exec, s[28:29]
	s_lshl_b32 s17, s16, 1
	s_add_i32 s17, s17, 2
	s_and_b64 s[28:29], s[0:1], exec
	s_cselect_b32 s27, 0, s17
	s_and_saveexec_b64 s[28:29], s[8:9]
	s_cbranch_execz .LBB43_22
; %bb.19:                               ;   in Loop: Header=BB43_12 Depth=1
	s_and_b64 s[30:31], s[24:25], exec
	s_cselect_b32 s34, s19, s26
	s_mul_i32 s36, s34, s13
	v_add_u32_e32 v0, s36, v9
	v_ashrrev_i32_e32 v1, 31, v0
	v_lshlrev_b64 v[0:1], 4, v[0:1]
	v_mov_b32_e32 v2, s3
	v_add_co_u32_e32 v0, vcc, s2, v0
	v_addc_co_u32_e32 v1, vcc, v2, v1, vcc
	flat_load_dwordx4 v[0:3], v[0:1]
	s_add_i32 s17, s16, -1
	s_and_b64 s[30:31], s[24:25], exec
	s_cselect_b32 s17, 0, s17
	s_add_i32 s30, s27, s17
	s_add_i32 s34, s34, s18
	s_ashr_i32 s31, s30, 31
	s_ashr_i32 s17, s16, 31
	s_mul_i32 s37, s13, s34
	s_lshl_b64 s[34:35], s[22:23], 3
	s_lshl_b64 s[30:31], s[30:31], 3
	s_add_u32 s30, s34, s30
	s_addc_u32 s31, s35, s31
	s_add_u32 s30, s42, s30
	s_addc_u32 s31, s43, s31
	s_ashr_i32 s35, s18, 31
	s_mov_b32 s34, s18
	s_lshl_b64 s[34:35], s[34:35], 3
	s_lshl_b64 s[44:45], s[16:17], 3
	s_add_u32 s17, s44, 40
	s_mul_i32 s38, s13, s18
	s_addc_u32 s39, s45, 0
	s_mov_b32 s44, s16
	v_mov_b32_e32 v6, v9
.LBB43_20:                              ;   Parent Loop BB43_12 Depth=1
                                        ; =>  This Inner Loop Header: Depth=2
	v_add_u32_e32 v4, s37, v6
	v_ashrrev_i32_e32 v5, 31, v4
	v_lshlrev_b64 v[4:5], 4, v[4:5]
	v_mov_b32_e32 v7, s3
	s_add_u32 s46, s30, s17
	v_add_co_u32_e32 v4, vcc, s2, v4
	s_addc_u32 s47, s31, s39
	v_addc_co_u32_e32 v5, vcc, v7, v5, vcc
	global_load_dwordx2 v[22:23], v12, s[30:31] offset:32
	global_load_dwordx2 v[24:25], v12, s[46:47]
	flat_load_dwordx4 v[14:17], v[4:5]
	v_add_u32_e32 v18, s36, v6
	v_ashrrev_i32_e32 v19, 31, v18
	v_lshlrev_b64 v[18:19], 4, v[18:19]
	v_add_co_u32_e32 v26, vcc, s2, v18
	s_add_u32 s30, s30, s34
	v_addc_co_u32_e32 v27, vcc, v7, v19, vcc
	s_addc_u32 s31, s31, s35
	s_add_i32 s44, s44, -1
	v_add_u32_e32 v6, s38, v6
	s_cmp_eq_u32 s44, 0
	s_waitcnt vmcnt(0) lgkmcnt(0)
	v_mul_f64 v[18:19], v[14:15], v[24:25]
	v_mul_f64 v[20:21], v[16:17], v[24:25]
	v_fma_f64 v[18:19], v[0:1], v[22:23], -v[18:19]
	v_fma_f64 v[20:21], v[2:3], v[22:23], -v[20:21]
	v_mul_f64 v[0:1], v[0:1], v[24:25]
	v_mul_f64 v[2:3], v[2:3], v[24:25]
	v_fmac_f64_e32 v[0:1], v[14:15], v[22:23]
	v_fmac_f64_e32 v[2:3], v[16:17], v[22:23]
	flat_store_dwordx4 v[26:27], v[18:21]
	s_cbranch_scc0 .LBB43_20
; %bb.21:                               ;   in Loop: Header=BB43_12 Depth=1
	flat_store_dwordx4 v[4:5], v[0:3]
.LBB43_22:                              ;   in Loop: Header=BB43_12 Depth=1
	s_or_b64 exec, exec, s[28:29]
	s_and_saveexec_b64 s[28:29], s[14:15]
	s_cbranch_execz .LBB43_10
; %bb.23:                               ;   in Loop: Header=BB43_12 Depth=1
	s_and_b64 s[30:31], s[24:25], exec
	s_cselect_b32 s17, s19, s26
	v_add_u32_e32 v6, s17, v11
	v_ashrrev_i32_e32 v7, 31, v6
	v_lshlrev_b64 v[4:5], 4, v[6:7]
	v_mov_b32_e32 v1, s21
	v_add_co_u32_e32 v0, vcc, s20, v4
	v_addc_co_u32_e32 v1, vcc, v1, v5, vcc
	flat_load_dwordx4 v[0:3], v[0:1]
	s_add_i32 s17, s16, -1
	s_and_b64 s[24:25], s[24:25], exec
	s_cselect_b32 s17, 0, s17
	s_add_i32 s24, s27, s17
	s_ashr_i32 s25, s24, 31
	s_ashr_i32 s17, s16, 31
	s_lshl_b64 s[22:23], s[22:23], 3
	s_lshl_b64 s[24:25], s[24:25], 3
	s_add_u32 s19, s22, s24
	s_addc_u32 s23, s23, s25
	s_add_u32 s22, s42, s19
	s_addc_u32 s23, s43, s23
	s_ashr_i32 s19, s18, 31
	s_lshl_b64 s[24:25], s[18:19], 3
	s_lshl_b64 s[26:27], s[16:17], 3
	v_add_u32_e32 v6, s18, v6
	s_add_u32 s17, s26, 40
	v_ashrrev_i32_e32 v7, 31, v6
	s_addc_u32 s30, s27, 0
	v_lshlrev_b64 v[6:7], 4, v[6:7]
	s_lshl_b64 s[26:27], s[18:19], 4
	s_mov_b64 s[18:19], s[20:21]
.LBB43_24:                              ;   Parent Loop BB43_12 Depth=1
                                        ; =>  This Inner Loop Header: Depth=2
	v_mov_b32_e32 v13, s19
	v_add_co_u32_e32 v18, vcc, s18, v6
	s_add_u32 s34, s22, s17
	v_addc_co_u32_e32 v19, vcc, v13, v7, vcc
	global_load_dwordx2 v[22:23], v12, s[22:23] offset:32
	s_addc_u32 s35, s23, s30
	flat_load_dwordx4 v[14:17], v[18:19]
	global_load_dwordx2 v[24:25], v12, s[34:35]
	s_add_i32 s16, s16, -1
	s_add_u32 s22, s22, s24
	s_addc_u32 s23, s23, s25
	v_add_co_u32_e32 v26, vcc, s18, v4
	s_add_u32 s18, s18, s26
	s_addc_u32 s19, s19, s27
	v_addc_co_u32_e32 v27, vcc, v13, v5, vcc
	s_cmp_eq_u32 s16, 0
	s_waitcnt vmcnt(0) lgkmcnt(0)
	v_mul_f64 v[18:19], v[14:15], v[24:25]
	v_mul_f64 v[20:21], v[16:17], v[24:25]
	v_fma_f64 v[18:19], v[0:1], v[22:23], -v[18:19]
	v_fma_f64 v[20:21], v[2:3], v[22:23], -v[20:21]
	v_mul_f64 v[0:1], v[0:1], v[24:25]
	v_mul_f64 v[2:3], v[2:3], v[24:25]
	v_fmac_f64_e32 v[0:1], v[14:15], v[22:23]
	v_fmac_f64_e32 v[2:3], v[16:17], v[22:23]
	flat_store_dwordx4 v[26:27], v[18:21]
	s_cbranch_scc0 .LBB43_24
	s_branch .LBB43_9
.LBB43_25:
	s_endpgm
	.section	.rodata,"a",@progbits
	.p2align	6, 0x0
	.amdhsa_kernel _ZN9rocsolver6v33100L12bdsqr_rotateI19rocblas_complex_numIdEdPS3_S4_S4_EEviiiiT1_iilT2_iilT3_iiliPiPT0_ilS8_
		.amdhsa_group_segment_fixed_size 0
		.amdhsa_private_segment_fixed_size 0
		.amdhsa_kernarg_size 392
		.amdhsa_user_sgpr_count 6
		.amdhsa_user_sgpr_private_segment_buffer 1
		.amdhsa_user_sgpr_dispatch_ptr 0
		.amdhsa_user_sgpr_queue_ptr 0
		.amdhsa_user_sgpr_kernarg_segment_ptr 1
		.amdhsa_user_sgpr_dispatch_id 0
		.amdhsa_user_sgpr_flat_scratch_init 0
		.amdhsa_user_sgpr_kernarg_preload_length 0
		.amdhsa_user_sgpr_kernarg_preload_offset 0
		.amdhsa_user_sgpr_private_segment_size 0
		.amdhsa_uses_dynamic_stack 0
		.amdhsa_system_sgpr_private_segment_wavefront_offset 0
		.amdhsa_system_sgpr_workgroup_id_x 1
		.amdhsa_system_sgpr_workgroup_id_y 1
		.amdhsa_system_sgpr_workgroup_id_z 1
		.amdhsa_system_sgpr_workgroup_info 0
		.amdhsa_system_vgpr_workitem_id 0
		.amdhsa_next_free_vgpr 28
		.amdhsa_next_free_sgpr 48
		.amdhsa_accum_offset 28
		.amdhsa_reserve_vcc 1
		.amdhsa_reserve_flat_scratch 0
		.amdhsa_float_round_mode_32 0
		.amdhsa_float_round_mode_16_64 0
		.amdhsa_float_denorm_mode_32 3
		.amdhsa_float_denorm_mode_16_64 3
		.amdhsa_dx10_clamp 1
		.amdhsa_ieee_mode 1
		.amdhsa_fp16_overflow 0
		.amdhsa_tg_split 0
		.amdhsa_exception_fp_ieee_invalid_op 0
		.amdhsa_exception_fp_denorm_src 0
		.amdhsa_exception_fp_ieee_div_zero 0
		.amdhsa_exception_fp_ieee_overflow 0
		.amdhsa_exception_fp_ieee_underflow 0
		.amdhsa_exception_fp_ieee_inexact 0
		.amdhsa_exception_int_div_zero 0
	.end_amdhsa_kernel
	.section	.text._ZN9rocsolver6v33100L12bdsqr_rotateI19rocblas_complex_numIdEdPS3_S4_S4_EEviiiiT1_iilT2_iilT3_iiliPiPT0_ilS8_,"axG",@progbits,_ZN9rocsolver6v33100L12bdsqr_rotateI19rocblas_complex_numIdEdPS3_S4_S4_EEviiiiT1_iilT2_iilT3_iiliPiPT0_ilS8_,comdat
.Lfunc_end43:
	.size	_ZN9rocsolver6v33100L12bdsqr_rotateI19rocblas_complex_numIdEdPS3_S4_S4_EEviiiiT1_iilT2_iilT3_iiliPiPT0_ilS8_, .Lfunc_end43-_ZN9rocsolver6v33100L12bdsqr_rotateI19rocblas_complex_numIdEdPS3_S4_S4_EEviiiiT1_iilT2_iilT3_iiliPiPT0_ilS8_
                                        ; -- End function
	.section	.AMDGPU.csdata,"",@progbits
; Kernel info:
; codeLenInByte = 1728
; NumSgprs: 52
; NumVgprs: 28
; NumAgprs: 0
; TotalNumVgprs: 28
; ScratchSize: 0
; MemoryBound: 0
; FloatMode: 240
; IeeeMode: 1
; LDSByteSize: 0 bytes/workgroup (compile time only)
; SGPRBlocks: 6
; VGPRBlocks: 3
; NumSGPRsForWavesPerEU: 52
; NumVGPRsForWavesPerEU: 28
; AccumOffset: 28
; Occupancy: 8
; WaveLimiterHint : 1
; COMPUTE_PGM_RSRC2:SCRATCH_EN: 0
; COMPUTE_PGM_RSRC2:USER_SGPR: 6
; COMPUTE_PGM_RSRC2:TRAP_HANDLER: 0
; COMPUTE_PGM_RSRC2:TGID_X_EN: 1
; COMPUTE_PGM_RSRC2:TGID_Y_EN: 1
; COMPUTE_PGM_RSRC2:TGID_Z_EN: 1
; COMPUTE_PGM_RSRC2:TIDIG_COMP_CNT: 0
; COMPUTE_PGM_RSRC3_GFX90A:ACCUM_OFFSET: 6
; COMPUTE_PGM_RSRC3_GFX90A:TG_SPLIT: 0
	.section	.text._ZN9rocsolver6v33100L22bdsqr_update_endpointsI19rocblas_complex_numIdEdEEviPT0_lPiS5_lS6_,"axG",@progbits,_ZN9rocsolver6v33100L22bdsqr_update_endpointsI19rocblas_complex_numIdEdEEviPT0_lPiS5_lS6_,comdat
	.globl	_ZN9rocsolver6v33100L22bdsqr_update_endpointsI19rocblas_complex_numIdEdEEviPT0_lPiS5_lS6_ ; -- Begin function _ZN9rocsolver6v33100L22bdsqr_update_endpointsI19rocblas_complex_numIdEdEEviPT0_lPiS5_lS6_
	.p2align	8
	.type	_ZN9rocsolver6v33100L22bdsqr_update_endpointsI19rocblas_complex_numIdEdEEviPT0_lPiS5_lS6_,@function
_ZN9rocsolver6v33100L22bdsqr_update_endpointsI19rocblas_complex_numIdEdEEviPT0_lPiS5_lS6_: ; @_ZN9rocsolver6v33100L22bdsqr_update_endpointsI19rocblas_complex_numIdEdEEviPT0_lPiS5_lS6_
; %bb.0:
	s_load_dwordx4 s[0:3], s[4:5], 0x28
	s_ashr_i32 s9, s8, 31
	s_lshl_b64 s[10:11], s[8:9], 2
	s_waitcnt lgkmcnt(0)
	s_add_u32 s2, s2, s10
	s_addc_u32 s3, s3, s11
	s_load_dword s2, s[2:3], 0x8
	s_waitcnt lgkmcnt(0)
	s_cmp_lg_u32 s2, 0
	s_cbranch_scc1 .LBB44_31
; %bb.1:
	s_load_dwordx8 s[12:19], s[4:5], 0x8
	s_mul_i32 s1, s8, s1
	s_mul_hi_u32 s2, s8, s0
	s_add_i32 s1, s2, s1
	s_mul_i32 s2, s9, s0
	s_add_i32 s1, s1, s2
	s_mul_i32 s0, s8, s0
	s_lshl_b64 s[0:1], s[0:1], 3
	s_waitcnt lgkmcnt(0)
	s_add_u32 s2, s18, s0
	s_addc_u32 s3, s19, s1
	s_load_dwordx4 s[20:23], s[2:3], 0x8
	s_waitcnt lgkmcnt(0)
	v_cvt_i32_f64_e32 v10, s[22:23]
	v_cmp_ge_i32_e32 vcc, s7, v10
	s_cbranch_vccnz .LBB44_31
; %bb.2:
	s_mul_i32 s0, s8, s15
	s_mul_hi_u32 s1, s8, s14
	s_add_i32 s0, s1, s0
	s_mul_i32 s1, s9, s14
	s_load_dword s9, s[4:5], 0x0
	s_load_dword s19, s[4:5], 0x3c
	s_add_i32 s1, s0, s1
	s_mul_i32 s0, s8, s14
	s_lshl_b64 s[0:1], s[0:1], 3
	s_add_u32 s6, s12, s0
	s_waitcnt lgkmcnt(0)
	s_mul_i32 s0, s8, s9
	s_addc_u32 s18, s13, s1
	s_lshl_b32 s0, s0, 1
	s_ashr_i32 s1, s0, 31
	s_lshl_b64 s[0:1], s[0:1], 2
	s_add_u32 s16, s16, s0
	s_addc_u32 s17, s17, s1
	s_add_u32 s22, s6, -8
	v_cvt_f64_i32_e32 v[4:5], v10
	s_addc_u32 s23, s18, -1
	v_mov_b32_e32 v6, 0
	s_branch .LBB44_4
.LBB44_3:                               ;   in Loop: Header=BB44_4 Depth=1
	s_add_i32 s7, s19, s7
	v_cmp_lt_i32_e32 vcc, s7, v10
	v_mov_b32_e32 v0, s24
	v_mov_b32_e32 v1, s14
	global_store_dwordx2 v6, v[0:1], s[4:5] offset:4
	s_cbranch_vccz .LBB44_31
.LBB44_4:                               ; =>This Loop Header: Depth=1
                                        ;     Child Loop BB44_9 Depth 2
                                        ;     Child Loop BB44_14 Depth 2
	;; [unrolled: 1-line block ×3, first 2 shown]
                                        ;       Child Loop BB44_26 Depth 3
	s_lshl_b32 s0, s7, 2
	s_ashr_i32 s1, s0, 31
	s_lshl_b64 s[0:1], s[0:1], 2
	s_add_u32 s4, s16, s0
	s_addc_u32 s5, s17, s1
	global_load_dwordx4 v[0:3], v6, s[4:5]
	s_waitcnt vmcnt(0)
	v_readfirstlane_b32 s0, v0
	s_cmp_eq_u32 s0, 0
	s_cselect_b64 s[0:1], -1, 0
	v_readfirstlane_b32 s10, v1
	v_readfirstlane_b32 s8, v2
	s_and_b64 vcc, exec, s[0:1]
	v_mov_b32_e32 v2, v3
	s_cbranch_vccnz .LBB44_6
; %bb.5:                                ;   in Loop: Header=BB44_4 Depth=1
	s_sub_i32 s9, s8, s10
	v_add_u32_e32 v2, s9, v3
	global_store_dword v6, v2, s[4:5] offset:12
.LBB44_6:                               ;   in Loop: Header=BB44_4 Depth=1
	s_cmp_le_i32 s8, s10
	s_cbranch_scc1 .LBB44_16
; %bb.7:                                ;   in Loop: Header=BB44_4 Depth=1
	s_ashr_i32 s11, s10, 31
	s_lshl_b64 s[12:13], s[10:11], 3
	s_add_u32 s12, s6, s12
	s_addc_u32 s13, s18, s13
	s_branch .LBB44_9
.LBB44_8:                               ;   in Loop: Header=BB44_9 Depth=2
	v_mov_b32_e32 v7, v6
	s_add_i32 s10, s10, 1
	global_store_dwordx2 v6, v[6:7], s[12:13]
	s_add_u32 s12, s12, 8
	s_addc_u32 s13, s13, 0
	s_cmp_ge_i32 s10, s8
	s_cselect_b64 s[14:15], -1, 0
	s_mov_b32 s24, s8
	s_andn2_b64 vcc, exec, s[14:15]
	s_cbranch_vccz .LBB44_11
.LBB44_9:                               ;   Parent Loop BB44_4 Depth=1
                                        ; =>  This Inner Loop Header: Depth=2
	global_load_dwordx2 v[0:1], v6, s[12:13]
	s_mov_b64 s[14:15], -1
	s_waitcnt vmcnt(0)
	v_cmp_nlt_f64_e64 s[24:25], |v[0:1]|, s[20:21]
	s_and_b64 vcc, exec, s[24:25]
	s_cbranch_vccz .LBB44_8
; %bb.10:                               ;   in Loop: Header=BB44_9 Depth=2
	s_mov_b32 s24, s10
                                        ; implicit-def: $sgpr10
                                        ; implicit-def: $sgpr12_sgpr13
	s_andn2_b64 vcc, exec, s[14:15]
	s_cbranch_vccnz .LBB44_9
.LBB44_11:                              ;   in Loop: Header=BB44_4 Depth=1
	s_cmp_le_i32 s8, s24
	s_cbranch_scc1 .LBB44_17
.LBB44_12:                              ;   in Loop: Header=BB44_4 Depth=1
	s_ashr_i32 s9, s8, 31
	s_lshl_b64 s[10:11], s[8:9], 3
	s_add_u32 s10, s22, s10
	s_addc_u32 s11, s23, s11
	s_branch .LBB44_14
.LBB44_13:                              ;   in Loop: Header=BB44_14 Depth=2
	v_mov_b32_e32 v7, v6
	s_add_i32 s8, s8, -1
	global_store_dwordx2 v6, v[6:7], s[10:11]
	s_add_u32 s10, s10, -8
	s_addc_u32 s11, s11, -1
	s_cmp_le_i32 s8, s24
	s_cselect_b64 s[12:13], -1, 0
	s_mov_b32 s14, s24
	s_andn2_b64 vcc, exec, s[12:13]
	s_cbranch_vccz .LBB44_18
.LBB44_14:                              ;   Parent Loop BB44_4 Depth=1
                                        ; =>  This Inner Loop Header: Depth=2
	global_load_dwordx2 v[0:1], v6, s[10:11]
	s_mov_b64 s[12:13], -1
	s_waitcnt vmcnt(0)
	v_cmp_nlt_f64_e64 s[14:15], |v[0:1]|, s[20:21]
	s_and_b64 vcc, exec, s[14:15]
	s_cbranch_vccz .LBB44_13
; %bb.15:                               ;   in Loop: Header=BB44_14 Depth=2
	s_mov_b32 s14, s8
                                        ; implicit-def: $sgpr8
                                        ; implicit-def: $sgpr10_sgpr11
	s_andn2_b64 vcc, exec, s[12:13]
	s_cbranch_vccnz .LBB44_14
	s_branch .LBB44_18
.LBB44_16:                              ;   in Loop: Header=BB44_4 Depth=1
	s_mov_b32 s24, s10
	s_cmp_le_i32 s8, s24
	s_cbranch_scc0 .LBB44_12
.LBB44_17:                              ;   in Loop: Header=BB44_4 Depth=1
	s_mov_b32 s14, s8
.LBB44_18:                              ;   in Loop: Header=BB44_4 Depth=1
	s_cmp_lt_i32 s24, s14
	s_cselect_b64 s[8:9], -1, 0
	s_and_b64 s[0:1], s[0:1], s[8:9]
	s_andn2_b64 vcc, exec, s[0:1]
	s_mov_b32 s8, s24
	s_cbranch_vccnz .LBB44_3
.LBB44_19:                              ;   Parent Loop BB44_4 Depth=1
                                        ; =>  This Loop Header: Depth=2
                                        ;       Child Loop BB44_26 Depth 3
	s_ashr_i32 s9, s8, 31
	s_lshl_b64 s[0:1], s[8:9], 3
	s_add_u32 s0, s6, s0
	s_addc_u32 s1, s18, s1
	global_load_dwordx2 v[0:1], v6, s[0:1]
	s_mov_b64 s[10:11], -1
                                        ; implicit-def: $sgpr9
	s_waitcnt vmcnt(0)
	v_cmp_lt_f64_e64 s[12:13], |v[0:1]|, s[20:21]
	s_and_b64 vcc, exec, s[12:13]
	s_cbranch_vccz .LBB44_22
; %bb.20:                               ;   in Loop: Header=BB44_19 Depth=2
	s_andn2_b64 vcc, exec, s[10:11]
	s_cbranch_vccz .LBB44_23
.LBB44_21:                              ;   in Loop: Header=BB44_19 Depth=2
	s_cmp_lt_i32 s9, s14
	s_cbranch_scc1 .LBB44_30
	s_branch .LBB44_3
.LBB44_22:                              ;   in Loop: Header=BB44_19 Depth=2
	s_add_i32 s9, s8, 1
	s_cbranch_execnz .LBB44_21
.LBB44_23:                              ;   in Loop: Header=BB44_19 Depth=2
	v_mov_b32_e32 v7, v6
	s_cmp_ge_i32 s24, s8
	global_store_dwordx2 v6, v[6:7], s[0:1]
	s_cbranch_scc1 .LBB44_29
; %bb.24:                               ;   in Loop: Header=BB44_19 Depth=2
	s_mov_b64 s[0:1], exec
	v_mbcnt_lo_u32_b32 v0, s0, 0
	v_mbcnt_hi_u32_b32 v3, s1, v0
	v_cmp_eq_u32_e32 vcc, 0, v3
                                        ; implicit-def: $vgpr0_vgpr1
	s_and_saveexec_b64 s[10:11], vcc
	s_cbranch_execz .LBB44_28
; %bb.25:                               ;   in Loop: Header=BB44_19 Depth=2
	global_load_dwordx2 v[0:1], v6, s[2:3] offset:24
	s_bcnt1_i32_b64 s0, s[0:1]
	v_cvt_f64_u32_e32 v[8:9], s0
	s_mov_b64 s[12:13], 0
.LBB44_26:                              ;   Parent Loop BB44_4 Depth=1
                                        ;     Parent Loop BB44_19 Depth=2
                                        ; =>    This Inner Loop Header: Depth=3
	s_waitcnt vmcnt(0)
	v_pk_mov_b32 v[14:15], v[0:1], v[0:1] op_sel:[0,1]
	v_add_f64 v[12:13], v[14:15], v[8:9]
	global_atomic_cmpswap_x2 v[0:1], v6, v[12:15], s[2:3] offset:24 glc
	s_waitcnt vmcnt(0)
	v_cmp_eq_u64_e64 s[0:1], v[0:1], v[14:15]
	s_or_b64 s[12:13], s[0:1], s[12:13]
	s_andn2_b64 exec, exec, s[12:13]
	s_cbranch_execnz .LBB44_26
; %bb.27:                               ;   in Loop: Header=BB44_19 Depth=2
	s_or_b64 exec, exec, s[12:13]
.LBB44_28:                              ;   in Loop: Header=BB44_19 Depth=2
	s_or_b64 exec, exec, s[10:11]
	v_readfirstlane_b32 s1, v1
	v_readfirstlane_b32 s0, v0
	v_cvt_f64_u32_e32 v[0:1], v3
	v_add_f64 v[0:1], s[0:1], v[0:1]
	v_mov_b32_e32 v3, s1
	v_cndmask_b32_e32 v1, v1, v3, vcc
	v_mov_b32_e32 v3, s0
	v_cndmask_b32_e32 v0, v0, v3, vcc
	v_add_f64 v[0:1], v[0:1], v[4:5]
	v_cvt_i32_f64_e32 v0, v[0:1]
	v_lshlrev_b32_e32 v0, 2, v0
	v_ashrrev_i32_e32 v1, 31, v0
	v_lshlrev_b64 v[0:1], 2, v[0:1]
	v_mov_b32_e32 v3, s17
	v_add_co_u32_e32 v8, vcc, s16, v0
	v_addc_co_u32_e32 v9, vcc, v3, v1, vcc
	v_mov_b32_e32 v0, s24
	v_mov_b32_e32 v1, s8
	global_store_dwordx3 v[8:9], v[0:2], off offset:4
.LBB44_29:                              ;   in Loop: Header=BB44_19 Depth=2
	s_add_i32 s9, s8, 1
	s_mov_b32 s24, s9
	s_cmp_lt_i32 s9, s14
	s_cbranch_scc0 .LBB44_3
.LBB44_30:                              ;   in Loop: Header=BB44_19 Depth=2
	s_mov_b32 s8, s9
	s_branch .LBB44_19
.LBB44_31:
	s_endpgm
	.section	.rodata,"a",@progbits
	.p2align	6, 0x0
	.amdhsa_kernel _ZN9rocsolver6v33100L22bdsqr_update_endpointsI19rocblas_complex_numIdEdEEviPT0_lPiS5_lS6_
		.amdhsa_group_segment_fixed_size 0
		.amdhsa_private_segment_fixed_size 0
		.amdhsa_kernarg_size 312
		.amdhsa_user_sgpr_count 6
		.amdhsa_user_sgpr_private_segment_buffer 1
		.amdhsa_user_sgpr_dispatch_ptr 0
		.amdhsa_user_sgpr_queue_ptr 0
		.amdhsa_user_sgpr_kernarg_segment_ptr 1
		.amdhsa_user_sgpr_dispatch_id 0
		.amdhsa_user_sgpr_flat_scratch_init 0
		.amdhsa_user_sgpr_kernarg_preload_length 0
		.amdhsa_user_sgpr_kernarg_preload_offset 0
		.amdhsa_user_sgpr_private_segment_size 0
		.amdhsa_uses_dynamic_stack 0
		.amdhsa_system_sgpr_private_segment_wavefront_offset 0
		.amdhsa_system_sgpr_workgroup_id_x 1
		.amdhsa_system_sgpr_workgroup_id_y 1
		.amdhsa_system_sgpr_workgroup_id_z 1
		.amdhsa_system_sgpr_workgroup_info 0
		.amdhsa_system_vgpr_workitem_id 0
		.amdhsa_next_free_vgpr 16
		.amdhsa_next_free_sgpr 26
		.amdhsa_accum_offset 16
		.amdhsa_reserve_vcc 1
		.amdhsa_reserve_flat_scratch 0
		.amdhsa_float_round_mode_32 0
		.amdhsa_float_round_mode_16_64 0
		.amdhsa_float_denorm_mode_32 3
		.amdhsa_float_denorm_mode_16_64 3
		.amdhsa_dx10_clamp 1
		.amdhsa_ieee_mode 1
		.amdhsa_fp16_overflow 0
		.amdhsa_tg_split 0
		.amdhsa_exception_fp_ieee_invalid_op 0
		.amdhsa_exception_fp_denorm_src 0
		.amdhsa_exception_fp_ieee_div_zero 0
		.amdhsa_exception_fp_ieee_overflow 0
		.amdhsa_exception_fp_ieee_underflow 0
		.amdhsa_exception_fp_ieee_inexact 0
		.amdhsa_exception_int_div_zero 0
	.end_amdhsa_kernel
	.section	.text._ZN9rocsolver6v33100L22bdsqr_update_endpointsI19rocblas_complex_numIdEdEEviPT0_lPiS5_lS6_,"axG",@progbits,_ZN9rocsolver6v33100L22bdsqr_update_endpointsI19rocblas_complex_numIdEdEEviPT0_lPiS5_lS6_,comdat
.Lfunc_end44:
	.size	_ZN9rocsolver6v33100L22bdsqr_update_endpointsI19rocblas_complex_numIdEdEEviPT0_lPiS5_lS6_, .Lfunc_end44-_ZN9rocsolver6v33100L22bdsqr_update_endpointsI19rocblas_complex_numIdEdEEviPT0_lPiS5_lS6_
                                        ; -- End function
	.section	.AMDGPU.csdata,"",@progbits
; Kernel info:
; codeLenInByte = 932
; NumSgprs: 30
; NumVgprs: 16
; NumAgprs: 0
; TotalNumVgprs: 16
; ScratchSize: 0
; MemoryBound: 0
; FloatMode: 240
; IeeeMode: 1
; LDSByteSize: 0 bytes/workgroup (compile time only)
; SGPRBlocks: 3
; VGPRBlocks: 1
; NumSGPRsForWavesPerEU: 30
; NumVGPRsForWavesPerEU: 16
; AccumOffset: 16
; Occupancy: 8
; WaveLimiterHint : 1
; COMPUTE_PGM_RSRC2:SCRATCH_EN: 0
; COMPUTE_PGM_RSRC2:USER_SGPR: 6
; COMPUTE_PGM_RSRC2:TRAP_HANDLER: 0
; COMPUTE_PGM_RSRC2:TGID_X_EN: 1
; COMPUTE_PGM_RSRC2:TGID_Y_EN: 1
; COMPUTE_PGM_RSRC2:TGID_Z_EN: 1
; COMPUTE_PGM_RSRC2:TIDIG_COMP_CNT: 0
; COMPUTE_PGM_RSRC3_GFX90A:ACCUM_OFFSET: 3
; COMPUTE_PGM_RSRC3_GFX90A:TG_SPLIT: 0
	.section	.text._ZN9rocsolver6v33100L19bdsqr_chk_completedI19rocblas_complex_numIdEdEEviiPiPT0_lS4_,"axG",@progbits,_ZN9rocsolver6v33100L19bdsqr_chk_completedI19rocblas_complex_numIdEdEEviiPiPT0_lS4_,comdat
	.globl	_ZN9rocsolver6v33100L19bdsqr_chk_completedI19rocblas_complex_numIdEdEEviiPiPT0_lS4_ ; -- Begin function _ZN9rocsolver6v33100L19bdsqr_chk_completedI19rocblas_complex_numIdEdEEviiPiPT0_lS4_
	.p2align	8
	.type	_ZN9rocsolver6v33100L19bdsqr_chk_completedI19rocblas_complex_numIdEdEEviiPiPT0_lS4_,@function
_ZN9rocsolver6v33100L19bdsqr_chk_completedI19rocblas_complex_numIdEdEEviiPiPT0_lS4_: ; @_ZN9rocsolver6v33100L19bdsqr_chk_completedI19rocblas_complex_numIdEdEEviiPiPT0_lS4_
; %bb.0:
	s_load_dwordx8 s[8:15], s[4:5], 0x8
	s_mov_b32 s2, s7
	s_ashr_i32 s3, s7, 31
	s_lshl_b64 s[0:1], s[2:3], 2
	s_waitcnt lgkmcnt(0)
	s_add_u32 s0, s14, s0
	s_addc_u32 s1, s15, s1
	s_load_dword s6, s[0:1], 0x8
	s_waitcnt lgkmcnt(0)
	s_cmp_lg_u32 s6, 0
	s_cbranch_scc0 .LBB45_2
.LBB45_1:
	s_endpgm
.LBB45_2:
	s_mul_i32 s6, s2, s13
	s_mul_hi_u32 s7, s2, s12
	s_add_i32 s6, s7, s6
	s_mul_i32 s3, s3, s12
	s_add_i32 s7, s6, s3
	s_mul_i32 s6, s2, s12
	s_lshl_b64 s[6:7], s[6:7], 3
	s_add_u32 s6, s10, s6
	s_addc_u32 s7, s11, s7
	s_load_dwordx4 s[16:19], s[6:7], 0x10
	s_load_dword s3, s[14:15], 0x4
	v_mov_b32_e32 v2, 0
	v_mov_b32_e32 v3, v2
	s_waitcnt lgkmcnt(0)
	v_mov_b32_e32 v0, s18
	v_mov_b32_e32 v1, s19
	v_add_f64 v[0:1], s[16:17], v[0:1]
	v_cvt_i32_f64_e32 v4, v[0:1]
	v_cmp_ge_i32_e32 vcc, s3, v4
	v_cvt_f64_i32_e32 v[0:1], v4
	global_store_dwordx4 v2, v[0:3], s[6:7] offset:16
	s_cbranch_vccnz .LBB45_6
; %bb.3:
	s_mov_b64 s[6:7], 0
	v_mov_b32_e32 v5, s3
.LBB45_4:                               ; =>This Inner Loop Header: Depth=1
	global_atomic_cmpswap v5, v2, v[4:5], s[14:15] offset:4 glc
	s_waitcnt vmcnt(0)
	v_cmp_ge_i32_e32 vcc, v5, v4
	s_or_b64 s[6:7], vcc, s[6:7]
	s_andn2_b64 exec, exec, s[6:7]
	s_cbranch_execnz .LBB45_4
; %bb.5:
	s_or_b64 exec, exec, s[6:7]
.LBB45_6:
	v_cmp_gt_i32_e32 vcc, 1, v4
	s_cbranch_vccnz .LBB45_14
; %bb.7:
	s_load_dwordx2 s[4:5], s[4:5], 0x0
	v_mov_b32_e32 v0, 0
	s_waitcnt lgkmcnt(0)
	s_mul_i32 s2, s2, s4
	s_lshl_b32 s2, s2, 1
	s_ashr_i32 s3, s2, 31
	s_lshl_b64 s[2:3], s[2:3], 2
	s_add_u32 s2, s2, s8
	s_addc_u32 s3, s3, s9
	s_add_u32 s2, s2, 12
	s_addc_u32 s3, s3, 0
	s_branch .LBB45_9
.LBB45_8:                               ;   in Loop: Header=BB45_9 Depth=1
	v_add_u32_e32 v4, -1, v4
	s_add_u32 s2, s2, 16
	s_addc_u32 s3, s3, 0
	s_mov_b64 s[6:7], 0
	v_cmp_eq_u32_e64 s[8:9], 0, v4
	s_andn2_b64 vcc, exec, s[8:9]
	s_cbranch_vccz .LBB45_13
.LBB45_9:                               ; =>This Inner Loop Header: Depth=1
	global_load_dwordx2 v[2:3], v0, s[2:3] offset:-8
	s_mov_b64 s[8:9], -1
                                        ; implicit-def: $sgpr6_sgpr7
	s_waitcnt vmcnt(0)
	v_cmp_ge_i32_e32 vcc, v2, v3
	s_cbranch_vccnz .LBB45_11
; %bb.10:                               ;   in Loop: Header=BB45_9 Depth=1
	global_load_dword v1, v0, s[2:3]
	s_mov_b64 s[6:7], -1
	s_waitcnt vmcnt(0)
	v_cmp_le_i32_e64 s[8:9], s5, v1
.LBB45_11:                              ;   in Loop: Header=BB45_9 Depth=1
	s_andn2_b64 vcc, exec, s[8:9]
	s_cbranch_vccz .LBB45_8
; %bb.12:
                                        ; implicit-def: $vgpr4
                                        ; implicit-def: $sgpr2_sgpr3
.LBB45_13:
	s_xor_b64 s[2:3], s[6:7], -1
	s_and_b64 vcc, exec, s[2:3]
	s_cbranch_vccz .LBB45_1
	s_branch .LBB45_15
.LBB45_14:
	s_cbranch_execz .LBB45_1
.LBB45_15:
	s_mov_b64 s[2:3], exec
	v_mov_b32_e32 v0, 0
	v_mov_b32_e32 v1, 1
	global_store_dword v0, v1, s[0:1] offset:8
	v_mbcnt_lo_u32_b32 v1, s2, 0
	v_mbcnt_hi_u32_b32 v1, s3, v1
	v_cmp_eq_u32_e32 vcc, 0, v1
	s_and_saveexec_b64 s[0:1], vcc
	s_cbranch_execz .LBB45_1
; %bb.16:
	s_bcnt1_i32_b64 s0, s[2:3]
	v_mov_b32_e32 v1, s0
	global_atomic_add v0, v1, s[14:15]
	s_endpgm
	.section	.rodata,"a",@progbits
	.p2align	6, 0x0
	.amdhsa_kernel _ZN9rocsolver6v33100L19bdsqr_chk_completedI19rocblas_complex_numIdEdEEviiPiPT0_lS4_
		.amdhsa_group_segment_fixed_size 0
		.amdhsa_private_segment_fixed_size 0
		.amdhsa_kernarg_size 40
		.amdhsa_user_sgpr_count 6
		.amdhsa_user_sgpr_private_segment_buffer 1
		.amdhsa_user_sgpr_dispatch_ptr 0
		.amdhsa_user_sgpr_queue_ptr 0
		.amdhsa_user_sgpr_kernarg_segment_ptr 1
		.amdhsa_user_sgpr_dispatch_id 0
		.amdhsa_user_sgpr_flat_scratch_init 0
		.amdhsa_user_sgpr_kernarg_preload_length 0
		.amdhsa_user_sgpr_kernarg_preload_offset 0
		.amdhsa_user_sgpr_private_segment_size 0
		.amdhsa_uses_dynamic_stack 0
		.amdhsa_system_sgpr_private_segment_wavefront_offset 0
		.amdhsa_system_sgpr_workgroup_id_x 1
		.amdhsa_system_sgpr_workgroup_id_y 1
		.amdhsa_system_sgpr_workgroup_id_z 0
		.amdhsa_system_sgpr_workgroup_info 0
		.amdhsa_system_vgpr_workitem_id 0
		.amdhsa_next_free_vgpr 6
		.amdhsa_next_free_sgpr 20
		.amdhsa_accum_offset 8
		.amdhsa_reserve_vcc 1
		.amdhsa_reserve_flat_scratch 0
		.amdhsa_float_round_mode_32 0
		.amdhsa_float_round_mode_16_64 0
		.amdhsa_float_denorm_mode_32 3
		.amdhsa_float_denorm_mode_16_64 3
		.amdhsa_dx10_clamp 1
		.amdhsa_ieee_mode 1
		.amdhsa_fp16_overflow 0
		.amdhsa_tg_split 0
		.amdhsa_exception_fp_ieee_invalid_op 0
		.amdhsa_exception_fp_denorm_src 0
		.amdhsa_exception_fp_ieee_div_zero 0
		.amdhsa_exception_fp_ieee_overflow 0
		.amdhsa_exception_fp_ieee_underflow 0
		.amdhsa_exception_fp_ieee_inexact 0
		.amdhsa_exception_int_div_zero 0
	.end_amdhsa_kernel
	.section	.text._ZN9rocsolver6v33100L19bdsqr_chk_completedI19rocblas_complex_numIdEdEEviiPiPT0_lS4_,"axG",@progbits,_ZN9rocsolver6v33100L19bdsqr_chk_completedI19rocblas_complex_numIdEdEEviiPiPT0_lS4_,comdat
.Lfunc_end45:
	.size	_ZN9rocsolver6v33100L19bdsqr_chk_completedI19rocblas_complex_numIdEdEEviiPiPT0_lS4_, .Lfunc_end45-_ZN9rocsolver6v33100L19bdsqr_chk_completedI19rocblas_complex_numIdEdEEviiPiPT0_lS4_
                                        ; -- End function
	.section	.AMDGPU.csdata,"",@progbits
; Kernel info:
; codeLenInByte = 436
; NumSgprs: 24
; NumVgprs: 6
; NumAgprs: 0
; TotalNumVgprs: 6
; ScratchSize: 0
; MemoryBound: 0
; FloatMode: 240
; IeeeMode: 1
; LDSByteSize: 0 bytes/workgroup (compile time only)
; SGPRBlocks: 2
; VGPRBlocks: 0
; NumSGPRsForWavesPerEU: 24
; NumVGPRsForWavesPerEU: 6
; AccumOffset: 8
; Occupancy: 8
; WaveLimiterHint : 0
; COMPUTE_PGM_RSRC2:SCRATCH_EN: 0
; COMPUTE_PGM_RSRC2:USER_SGPR: 6
; COMPUTE_PGM_RSRC2:TRAP_HANDLER: 0
; COMPUTE_PGM_RSRC2:TGID_X_EN: 1
; COMPUTE_PGM_RSRC2:TGID_Y_EN: 1
; COMPUTE_PGM_RSRC2:TGID_Z_EN: 0
; COMPUTE_PGM_RSRC2:TIDIG_COMP_CNT: 0
; COMPUTE_PGM_RSRC3_GFX90A:ACCUM_OFFSET: 1
; COMPUTE_PGM_RSRC3_GFX90A:TG_SPLIT: 0
	.section	.text._ZN9rocsolver6v33100L14bdsqr_finalizeI19rocblas_complex_numIdEdPS3_S4_S4_EEviiiiPT0_lS6_lT1_iilT2_iilT3_iilPiSA_SA_,"axG",@progbits,_ZN9rocsolver6v33100L14bdsqr_finalizeI19rocblas_complex_numIdEdPS3_S4_S4_EEviiiiPT0_lS6_lT1_iilT2_iilT3_iilPiSA_SA_,comdat
	.globl	_ZN9rocsolver6v33100L14bdsqr_finalizeI19rocblas_complex_numIdEdPS3_S4_S4_EEviiiiPT0_lS6_lT1_iilT2_iilT3_iilPiSA_SA_ ; -- Begin function _ZN9rocsolver6v33100L14bdsqr_finalizeI19rocblas_complex_numIdEdPS3_S4_S4_EEviiiiPT0_lS6_lT1_iilT2_iilT3_iilPiSA_SA_
	.p2align	8
	.type	_ZN9rocsolver6v33100L14bdsqr_finalizeI19rocblas_complex_numIdEdPS3_S4_S4_EEviiiiPT0_lS6_lT1_iilT2_iilT3_iilPiSA_SA_,@function
_ZN9rocsolver6v33100L14bdsqr_finalizeI19rocblas_complex_numIdEdPS3_S4_S4_EEviiiiPT0_lS6_lT1_iilT2_iilT3_iilPiSA_SA_: ; @_ZN9rocsolver6v33100L14bdsqr_finalizeI19rocblas_complex_numIdEdPS3_S4_S4_EEviiiiPT0_lS6_lT1_iilT2_iilT3_iilPiSA_SA_
; %bb.0:
	s_add_u32 flat_scratch_lo, s8, s12
	s_load_dwordx8 s[36:43], s[6:7], 0x70
	s_addc_u32 flat_scratch_hi, s9, 0
	s_add_u32 s0, s0, s12
	s_addc_u32 s1, s1, 0
	s_mov_b32 s14, s11
	s_ashr_i32 s15, s11, 31
	s_lshl_b64 s[26:27], s[14:15], 2
	s_waitcnt lgkmcnt(0)
	s_add_u32 s8, s42, s26
	s_addc_u32 s9, s43, s27
	s_load_dword s8, s[8:9], 0x8
	s_movk_i32 s32, 0x1400
	s_waitcnt lgkmcnt(0)
	s_cmp_gt_i32 s8, 1
	s_cbranch_scc1 .LBB46_260
; %bb.1:
	s_load_dwordx2 s[12:13], s[6:7], 0x9c
	s_load_dwordx8 s[44:51], s[6:7], 0x30
	s_load_dwordx8 s[52:59], s[6:7], 0x10
	s_mov_b64 s[28:29], 0
	s_mov_b64 s[34:35], 0
	s_waitcnt lgkmcnt(0)
	s_and_b32 s13, s13, 0xffff
	s_cmp_eq_u64 s[44:45], 0
	s_cbranch_scc1 .LBB46_3
; %bb.2:
	s_mul_i32 s10, s14, s49
	s_mul_hi_u32 s11, s14, s48
	s_add_i32 s10, s11, s10
	s_mul_i32 s11, s15, s48
	s_add_i32 s11, s10, s11
	s_mul_i32 s10, s14, s48
	s_ashr_i32 s9, s46, 31
	s_lshl_b64 s[10:11], s[10:11], 4
	s_mov_b32 s8, s46
	s_add_u32 s10, s44, s10
	s_addc_u32 s11, s45, s11
	s_lshl_b64 s[8:9], s[8:9], 4
	s_add_u32 s34, s10, s8
	s_addc_u32 s35, s11, s9
.LBB46_3:
	s_load_dwordx2 s[42:43], s[6:7], 0x50
	s_load_dwordx4 s[8:11], s[6:7], 0x58
	s_cmp_eq_u64 s[50:51], 0
	s_cbranch_scc1 .LBB46_5
; %bb.4:
	s_waitcnt lgkmcnt(0)
	s_mul_i32 s9, s14, s9
	s_mul_hi_u32 s18, s14, s8
	s_add_i32 s9, s18, s9
	s_mul_i32 s18, s15, s8
	s_add_i32 s9, s9, s18
	s_mul_i32 s8, s14, s8
	s_ashr_i32 s17, s42, 31
	s_lshl_b64 s[8:9], s[8:9], 4
	s_mov_b32 s16, s42
	s_add_u32 s18, s50, s8
	s_addc_u32 s19, s51, s9
	s_lshl_b64 s[8:9], s[16:17], 4
	s_add_u32 s28, s18, s8
	s_addc_u32 s29, s19, s9
.LBB46_5:
	s_load_dwordx2 s[60:61], s[6:7], 0x68
	s_waitcnt lgkmcnt(0)
	s_cmp_eq_u64 s[10:11], 0
	s_mov_b64 s[44:45], 0
	s_cbranch_scc1 .LBB46_7
; %bb.6:
	s_mul_i32 s16, s14, s37
	s_mul_hi_u32 s17, s14, s36
	s_add_i32 s16, s17, s16
	s_mul_i32 s17, s15, s36
	s_add_i32 s17, s16, s17
	s_mul_i32 s16, s14, s36
	s_ashr_i32 s9, s60, 31
	s_lshl_b64 s[16:17], s[16:17], 4
	s_mov_b32 s8, s60
	s_add_u32 s10, s10, s16
	s_addc_u32 s11, s11, s17
	s_lshl_b64 s[8:9], s[8:9], 4
	s_add_u32 s44, s10, s8
	s_addc_u32 s45, s11, s9
.LBB46_7:
	s_mul_i32 s8, s14, s55
	s_mul_hi_u32 s9, s14, s54
	s_add_i32 s8, s9, s8
	s_mul_i32 s9, s15, s54
	s_add_i32 s9, s8, s9
	s_mul_i32 s8, s14, s54
	s_lshl_b64 s[54:55], s[8:9], 3
	s_add_u32 s36, s52, s54
	s_load_dwordx4 s[48:51], s[6:7], 0x0
	s_addc_u32 s37, s53, s55
	s_lshr_b32 s8, s12, 16
	s_and_b32 s42, s12, 0xffff
	v_bfe_u32 v43, v0, 10, 10
	v_bfe_u32 v44, v0, 20, 10
	s_mul_i32 s60, s8, s42
	v_and_b32_e32 v42, 0x3ff, v0
	v_mul_u32_u24_e32 v0, s42, v43
	v_mul_lo_u32 v1, s60, v44
	v_add3_u32 v41, v0, v42, v1
	s_and_b32 s8, s13, 0xffff
	s_mul_i32 s60, s60, s8
	s_waitcnt lgkmcnt(0)
	s_cmp_lt_i32 s48, 1
	v_cmp_eq_u32_e64 s[8:9], 0, v41
	s_cbranch_scc1 .LBB46_22
; %bb.8:
	s_mul_i32 s10, s14, s59
	s_mul_hi_u32 s11, s14, s58
	s_add_i32 s10, s11, s10
	s_mul_i32 s11, s15, s58
	s_add_i32 s11, s10, s11
	s_mul_i32 s10, s14, s58
	s_lshl_b64 s[10:11], s[10:11], 3
	s_add_u32 s15, s56, s10
	s_addc_u32 s24, s57, s11
	s_add_i32 s25, s48, -1
	s_cmp_lg_u32 s49, 0
	s_cselect_b64 s[12:13], -1, 0
	s_mov_b32 s17, 0
	v_cndmask_b32_e64 v0, 0, 1, s[12:13]
	v_cmp_gt_u32_e64 s[10:11], s49, v41
	s_ashr_i32 s30, s47, 31
	s_mov_b32 s31, s47
	v_mov_b32_e32 v2, 0
	v_cmp_ne_u32_e64 s[12:13], 1, v0
	v_mov_b32_e32 v3, s35
	s_mov_b32 s16, s17
	s_mov_b32 s46, s17
	s_branch .LBB46_11
.LBB46_9:                               ;   in Loop: Header=BB46_11 Depth=1
	s_or_b64 exec, exec, s[20:21]
.LBB46_10:                              ;   in Loop: Header=BB46_11 Depth=1
	s_add_i32 s16, s16, 1
	s_cmp_eq_u32 s16, s48
	s_cbranch_scc1 .LBB46_23
.LBB46_11:                              ; =>This Loop Header: Depth=1
                                        ;     Child Loop BB46_18 Depth 2
	s_cmp_ge_i32 s16, s25
	s_cbranch_scc1 .LBB46_14
; %bb.12:                               ;   in Loop: Header=BB46_11 Depth=1
	s_lshl_b64 s[18:19], s[16:17], 3
	s_add_u32 s18, s15, s18
	s_addc_u32 s19, s24, s19
	global_load_dwordx2 v[0:1], v2, s[18:19]
	s_waitcnt vmcnt(0)
	v_cmp_eq_f64_e32 vcc, 0, v[0:1]
	s_cbranch_vccnz .LBB46_14
; %bb.13:                               ;   in Loop: Header=BB46_11 Depth=1
	s_add_i32 s46, s46, 1
.LBB46_14:                              ;   in Loop: Header=BB46_11 Depth=1
	s_lshl_b64 s[18:19], s[16:17], 3
	s_add_u32 s18, s36, s18
	s_addc_u32 s19, s37, s19
	global_load_dwordx2 v[0:1], v2, s[18:19]
	s_waitcnt vmcnt(0)
	v_cmp_ngt_f64_e32 vcc, 0, v[0:1]
	s_cbranch_vccnz .LBB46_10
; %bb.15:                               ;   in Loop: Header=BB46_11 Depth=1
	s_and_b64 vcc, exec, s[12:13]
	s_cbranch_vccnz .LBB46_20
; %bb.16:                               ;   in Loop: Header=BB46_11 Depth=1
	s_and_saveexec_b64 s[20:21], s[10:11]
	s_cbranch_execz .LBB46_19
; %bb.17:                               ;   in Loop: Header=BB46_11 Depth=1
	s_mov_b64 s[22:23], 0
	v_pk_mov_b32 v[0:1], s[16:17], s[16:17] op_sel:[0,1]
	v_mov_b32_e32 v4, v41
.LBB46_18:                              ;   Parent Loop BB46_11 Depth=1
                                        ; =>  This Inner Loop Header: Depth=2
	v_mad_u64_u32 v[6:7], s[56:57], v4, s31, v[0:1]
	v_mov_b32_e32 v8, v7
	v_mad_u64_u32 v[8:9], s[56:57], v4, s30, v[8:9]
	v_mov_b32_e32 v7, v8
	v_lshlrev_b64 v[6:7], 4, v[6:7]
	v_add_co_u32_e32 v10, vcc, s34, v6
	v_addc_co_u32_e32 v11, vcc, v3, v7, vcc
	flat_load_dwordx4 v[6:9], v[10:11]
	v_add_u32_e32 v4, s60, v4
	v_cmp_le_u32_e32 vcc, s49, v4
	s_or_b64 s[22:23], vcc, s[22:23]
	s_waitcnt vmcnt(0) lgkmcnt(0)
	v_xor_b32_e32 v7, 0x80000000, v7
	v_xor_b32_e32 v9, 0x80000000, v9
	flat_store_dwordx4 v[10:11], v[6:9]
	s_andn2_b64 exec, exec, s[22:23]
	s_cbranch_execnz .LBB46_18
.LBB46_19:                              ;   in Loop: Header=BB46_11 Depth=1
	s_or_b64 exec, exec, s[20:21]
	s_waitcnt lgkmcnt(0)
	s_barrier
.LBB46_20:                              ;   in Loop: Header=BB46_11 Depth=1
	s_and_saveexec_b64 s[20:21], s[8:9]
	s_cbranch_execz .LBB46_9
; %bb.21:                               ;   in Loop: Header=BB46_11 Depth=1
	global_load_dwordx2 v[0:1], v2, s[18:19]
	s_waitcnt vmcnt(0)
	v_xor_b32_e32 v1, 0x80000000, v1
	global_store_dwordx2 v2, v[0:1], s[18:19]
	s_branch .LBB46_9
.LBB46_22:
	s_mov_b32 s46, 0
.LBB46_23:
	s_cmp_lt_i32 s46, 1
	s_mov_b64 s[8:9], -1
	s_cbranch_scc0 .LBB46_257
; %bb.24:
	s_mul_i32 s8, s14, s48
	s_lshl_b32 s8, s8, 1
	s_ashr_i32 s9, s8, 31
	s_lshl_b64 s[8:9], s[8:9], 2
	s_add_u32 s8, s40, s8
	s_addc_u32 s9, s41, s9
	s_cmp_lg_u64 s[40:41], 0
	s_cselect_b32 s57, s9, 0
	s_cselect_b32 s56, s8, 0
	s_mov_b64 s[62:63], 0
	s_cmp_lg_u64 s[56:57], 0
	s_barrier
	s_cbranch_scc0 .LBB46_38
; %bb.25:
	s_or_b32 s8, s50, s49
	s_or_b32 s10, s8, s51
	s_cmp_gt_i32 s48, 0
	s_cselect_b64 s[64:65], -1, 0
	s_cmp_lg_u64 s[52:53], 0
	s_cselect_b64 s[8:9], -1, 0
	s_and_b64 s[40:41], s[64:65], s[8:9]
	s_cmp_eq_u32 s10, 0
	s_cbranch_scc1 .LBB46_39
; %bb.26:
	s_mov_b64 s[66:67], -1
	s_mov_b64 s[58:59], 0
	s_and_b64 vcc, exec, s[40:41]
	s_cbranch_vccz .LBB46_117
; %bb.27:
	v_cmp_gt_u32_e32 vcc, s48, v41
	s_barrier
	s_and_saveexec_b64 s[8:9], vcc
	s_cbranch_execz .LBB46_30
; %bb.28:
	s_mov_b64 s[10:11], 0
	v_mov_b32_e32 v1, 0
	v_mov_b32_e32 v2, s57
	;; [unrolled: 1-line block ×3, first 2 shown]
.LBB46_29:                              ; =>This Inner Loop Header: Depth=1
	v_lshlrev_b64 v[4:5], 2, v[0:1]
	v_add_co_u32_e32 v4, vcc, s56, v4
	v_addc_co_u32_e32 v5, vcc, v2, v5, vcc
	global_store_dword v[4:5], v0, off
	v_add_u32_e32 v0, s60, v0
	v_cmp_le_u32_e32 vcc, s48, v0
	s_or_b64 s[10:11], vcc, s[10:11]
	s_andn2_b64 exec, exec, s[10:11]
	s_cbranch_execnz .LBB46_29
.LBB46_30:
	s_or_b64 exec, exec, s[8:9]
	v_or3_b32 v0, v43, v44, v42
	v_cmp_eq_u32_e32 vcc, 0, v0
	s_barrier
	s_and_saveexec_b64 s[8:9], vcc
	s_cbranch_execz .LBB46_101
; %bb.31:
	s_cmpk_lt_i32 s48, 0x2be
	s_cbranch_scc1 .LBB46_40
; %bb.32:
	s_add_u32 s10, s56, 0xaf4
	s_addc_u32 s11, s57, 0
	s_mov_b64 s[12:13], 0x2bd
	s_mov_b32 s15, 0
	v_mov_b32_e32 v4, 0
	v_mov_b32_e32 v5, 0x1000
	s_mov_b64 s[16:17], s[36:37]
	s_branch .LBB46_34
.LBB46_33:                              ;   in Loop: Header=BB46_34 Depth=1
	s_lshl_b64 s[18:19], s[24:25], 3
	s_add_u32 s18, s36, s18
	s_addc_u32 s19, s37, s19
	global_store_dwordx2 v4, v[0:1], s[18:19]
	s_lshl_b64 s[18:19], s[24:25], 2
	s_add_u32 s18, s56, s18
	s_addc_u32 s19, s57, s19
	s_add_u32 s12, s12, 1
	s_addc_u32 s13, s13, 0
	;; [unrolled: 2-line block ×4, first 2 shown]
	s_cmp_eq_u32 s12, s48
	global_store_dword v4, v6, s[18:19]
	s_cbranch_scc1 .LBB46_40
.LBB46_34:                              ; =>This Loop Header: Depth=1
                                        ;     Child Loop BB46_36 Depth 2
	s_mov_b32 s14, s12
	s_lshl_b64 s[18:19], s[14:15], 3
	s_add_u32 s18, s36, s18
	s_addc_u32 s19, s37, s19
	s_lshl_b64 s[20:21], s[14:15], 2
	s_add_u32 s20, s56, s20
	s_addc_u32 s21, s57, s21
	global_load_dwordx2 v[0:1], v4, s[18:19]
	global_load_dword v6, v4, s[20:21]
	s_mov_b64 s[22:23], s[10:11]
	s_mov_b64 s[18:19], s[16:17]
	;; [unrolled: 1-line block ×3, first 2 shown]
	s_branch .LBB46_36
.LBB46_35:                              ;   in Loop: Header=BB46_36 Depth=2
	global_load_dword v7, v4, s[22:23] offset:-2804
	s_add_u32 s62, s22, 0xfffff50c
	s_addc_u32 s63, s23, -1
	s_add_u32 s24, s20, 0xfffffd43
	s_addc_u32 s25, s21, -1
	global_store_dwordx2 v5, v[2:3], s[18:19] offset:1512
	s_add_u32 s18, s18, 0xffffea18
	s_addc_u32 s19, s19, -1
	s_cmpk_lt_i32 s20, 0x57a
	s_mov_b64 s[20:21], s[24:25]
	s_cselect_b64 s[30:31], -1, 0
	s_waitcnt vmcnt(1)
	global_store_dword v4, v7, s[22:23]
	s_mov_b64 s[22:23], s[62:63]
	s_andn2_b64 vcc, exec, s[30:31]
	s_cbranch_vccz .LBB46_33
.LBB46_36:                              ;   Parent Loop BB46_34 Depth=1
                                        ; =>  This Inner Loop Header: Depth=2
	global_load_dwordx2 v[2:3], v4, s[18:19]
	s_mov_b64 s[30:31], -1
	s_waitcnt vmcnt(0)
	v_cmp_nlt_f64_e32 vcc, v[2:3], v[0:1]
	s_cbranch_vccz .LBB46_35
; %bb.37:                               ;   in Loop: Header=BB46_36 Depth=2
                                        ; implicit-def: $sgpr18_sgpr19
                                        ; implicit-def: $sgpr22_sgpr23
	s_mov_b64 s[24:25], s[20:21]
	s_andn2_b64 vcc, exec, s[30:31]
	s_cbranch_vccnz .LBB46_36
	s_branch .LBB46_33
.LBB46_38:
	s_branch .LBB46_233
.LBB46_39:
	s_mov_b64 s[58:59], 0
	s_cbranch_execnz .LBB46_142
	s_branch .LBB46_228
.LBB46_40:
	s_cmpk_lt_i32 s48, 0x12e
	s_cbranch_scc1 .LBB46_49
; %bb.41:
	s_add_u32 s10, s56, 0x4b4
	s_addc_u32 s11, s57, 0
	s_mov_b64 s[12:13], 0x12d
	s_mov_b32 s15, 0
	v_mov_b32_e32 v4, 0
	s_mov_b64 s[16:17], s[36:37]
	s_branch .LBB46_43
.LBB46_42:                              ;   in Loop: Header=BB46_43 Depth=1
	s_lshl_b64 s[20:21], s[18:19], 3
	s_add_u32 s20, s36, s20
	s_addc_u32 s21, s37, s21
	s_lshl_b64 s[18:19], s[18:19], 2
	s_add_u32 s18, s56, s18
	s_addc_u32 s19, s57, s19
	s_add_u32 s12, s12, 1
	s_addc_u32 s13, s13, 0
	;; [unrolled: 2-line block ×4, first 2 shown]
	s_cmp_lg_u32 s12, s48
	global_store_dwordx2 v4, v[0:1], s[20:21]
	global_store_dword v4, v5, s[18:19]
	s_cbranch_scc0 .LBB46_49
.LBB46_43:                              ; =>This Loop Header: Depth=1
                                        ;     Child Loop BB46_45 Depth 2
	s_mov_b32 s14, s12
	s_lshl_b64 s[18:19], s[14:15], 3
	s_add_u32 s18, s36, s18
	s_addc_u32 s19, s37, s19
	s_lshl_b64 s[20:21], s[14:15], 2
	s_add_u32 s20, s56, s20
	s_addc_u32 s21, s57, s21
	global_load_dwordx2 v[0:1], v4, s[18:19]
	global_load_dword v5, v4, s[20:21]
	s_mov_b64 s[20:21], s[16:17]
	s_mov_b64 s[22:23], s[10:11]
	s_mov_b64 s[18:19], s[12:13]
	s_branch .LBB46_45
.LBB46_44:                              ;   in Loop: Header=BB46_45 Depth=2
	global_load_dword v6, v4, s[22:23] offset:-1204
	s_add_u32 s66, s22, 0xfffffb4c
	s_addc_u32 s67, s23, -1
	s_add_u32 s30, s18, 0xfffffed3
	s_addc_u32 s31, s19, -1
	global_store_dwordx2 v4, v[2:3], s[20:21] offset:2408
	s_add_u32 s20, s20, 0xfffff698
	s_addc_u32 s21, s21, -1
	s_cmpk_lt_i32 s18, 0x25a
	s_mov_b64 s[24:25], 0
	s_mov_b64 s[18:19], s[30:31]
	s_cselect_b64 s[62:63], -1, 0
	s_waitcnt vmcnt(1)
	global_store_dword v4, v6, s[22:23]
	s_mov_b64 s[22:23], s[66:67]
	s_andn2_b64 vcc, exec, s[62:63]
	s_cbranch_vccz .LBB46_47
.LBB46_45:                              ;   Parent Loop BB46_43 Depth=1
                                        ; =>  This Inner Loop Header: Depth=2
	global_load_dwordx2 v[2:3], v4, s[20:21]
	s_mov_b64 s[24:25], -1
	s_waitcnt vmcnt(0)
	v_cmp_nlt_f64_e32 vcc, v[2:3], v[0:1]
	s_cbranch_vccz .LBB46_44
; %bb.46:                               ;   in Loop: Header=BB46_43 Depth=1
                                        ; implicit-def: $sgpr22_sgpr23
                                        ; implicit-def: $sgpr20_sgpr21
                                        ; implicit-def: $sgpr30_sgpr31
.LBB46_47:                              ;   in Loop: Header=BB46_43 Depth=1
	s_andn2_b64 vcc, exec, s[24:25]
	s_cbranch_vccz .LBB46_42
; %bb.48:                               ;   in Loop: Header=BB46_43 Depth=1
	s_bfe_i64 s[18:19], s[30:31], 0x200000
	s_branch .LBB46_42
.LBB46_49:
	s_cmpk_lt_i32 s48, 0x85
	s_cbranch_scc1 .LBB46_58
; %bb.50:
	s_add_u32 s10, s56, 0x210
	s_addc_u32 s11, s57, 0
	s_mov_b64 s[12:13], 0x84
	s_mov_b32 s15, 0
	v_mov_b32_e32 v4, 0
	s_mov_b64 s[16:17], s[36:37]
	s_branch .LBB46_52
.LBB46_51:                              ;   in Loop: Header=BB46_52 Depth=1
	s_lshl_b64 s[20:21], s[18:19], 3
	s_add_u32 s20, s36, s20
	s_addc_u32 s21, s37, s21
	s_lshl_b64 s[18:19], s[18:19], 2
	s_add_u32 s18, s56, s18
	s_addc_u32 s19, s57, s19
	s_add_u32 s12, s12, 1
	s_addc_u32 s13, s13, 0
	;; [unrolled: 2-line block ×4, first 2 shown]
	s_cmp_lg_u32 s12, s48
	global_store_dwordx2 v4, v[0:1], s[20:21]
	global_store_dword v4, v5, s[18:19]
	s_cbranch_scc0 .LBB46_58
.LBB46_52:                              ; =>This Loop Header: Depth=1
                                        ;     Child Loop BB46_54 Depth 2
	s_mov_b32 s14, s12
	s_lshl_b64 s[18:19], s[14:15], 3
	s_add_u32 s18, s36, s18
	s_addc_u32 s19, s37, s19
	s_lshl_b64 s[20:21], s[14:15], 2
	s_add_u32 s20, s56, s20
	s_addc_u32 s21, s57, s21
	global_load_dwordx2 v[0:1], v4, s[18:19]
	global_load_dword v5, v4, s[20:21]
	s_mov_b64 s[20:21], s[16:17]
	s_mov_b64 s[22:23], s[10:11]
	;; [unrolled: 1-line block ×3, first 2 shown]
	s_branch .LBB46_54
.LBB46_53:                              ;   in Loop: Header=BB46_54 Depth=2
	global_load_dword v6, v4, s[22:23] offset:-528
	s_add_u32 s66, s22, 0xfffffdf0
	s_addc_u32 s67, s23, -1
	s_add_u32 s30, s18, 0xffffff7c
	s_addc_u32 s31, s19, -1
	global_store_dwordx2 v4, v[2:3], s[20:21] offset:1056
	s_add_u32 s20, s20, 0xfffffbe0
	s_addc_u32 s21, s21, -1
	s_cmpk_lt_i32 s18, 0x108
	s_mov_b64 s[24:25], 0
	s_mov_b64 s[18:19], s[30:31]
	s_cselect_b64 s[62:63], -1, 0
	s_waitcnt vmcnt(1)
	global_store_dword v4, v6, s[22:23]
	s_mov_b64 s[22:23], s[66:67]
	s_andn2_b64 vcc, exec, s[62:63]
	s_cbranch_vccz .LBB46_56
.LBB46_54:                              ;   Parent Loop BB46_52 Depth=1
                                        ; =>  This Inner Loop Header: Depth=2
	global_load_dwordx2 v[2:3], v4, s[20:21]
	s_mov_b64 s[24:25], -1
	s_waitcnt vmcnt(0)
	v_cmp_nlt_f64_e32 vcc, v[2:3], v[0:1]
	s_cbranch_vccz .LBB46_53
; %bb.55:                               ;   in Loop: Header=BB46_52 Depth=1
                                        ; implicit-def: $sgpr22_sgpr23
                                        ; implicit-def: $sgpr20_sgpr21
                                        ; implicit-def: $sgpr30_sgpr31
.LBB46_56:                              ;   in Loop: Header=BB46_52 Depth=1
	s_andn2_b64 vcc, exec, s[24:25]
	s_cbranch_vccz .LBB46_51
; %bb.57:                               ;   in Loop: Header=BB46_52 Depth=1
	s_bfe_i64 s[18:19], s[30:31], 0x200000
	s_branch .LBB46_51
.LBB46_58:
	s_cmp_lt_i32 s48, 58
	s_cbranch_scc1 .LBB46_67
; %bb.59:
	s_add_u32 s10, s56, 0xe4
	s_addc_u32 s11, s57, 0
	s_mov_b64 s[12:13], 57
	s_mov_b32 s15, 0
	v_mov_b32_e32 v4, 0
	s_mov_b64 s[16:17], s[36:37]
	s_branch .LBB46_61
.LBB46_60:                              ;   in Loop: Header=BB46_61 Depth=1
	s_lshl_b64 s[20:21], s[18:19], 3
	s_add_u32 s20, s36, s20
	s_addc_u32 s21, s37, s21
	s_lshl_b64 s[18:19], s[18:19], 2
	s_add_u32 s18, s56, s18
	s_addc_u32 s19, s57, s19
	s_add_u32 s12, s12, 1
	s_addc_u32 s13, s13, 0
	;; [unrolled: 2-line block ×4, first 2 shown]
	s_cmp_lg_u32 s12, s48
	global_store_dwordx2 v4, v[0:1], s[20:21]
	global_store_dword v4, v5, s[18:19]
	s_cbranch_scc0 .LBB46_67
.LBB46_61:                              ; =>This Loop Header: Depth=1
                                        ;     Child Loop BB46_63 Depth 2
	s_mov_b32 s14, s12
	s_lshl_b64 s[18:19], s[14:15], 3
	s_add_u32 s18, s36, s18
	s_addc_u32 s19, s37, s19
	s_lshl_b64 s[20:21], s[14:15], 2
	s_add_u32 s20, s56, s20
	s_addc_u32 s21, s57, s21
	global_load_dwordx2 v[0:1], v4, s[18:19]
	global_load_dword v5, v4, s[20:21]
	s_mov_b64 s[20:21], s[16:17]
	s_mov_b64 s[22:23], s[10:11]
	;; [unrolled: 1-line block ×3, first 2 shown]
	s_branch .LBB46_63
.LBB46_62:                              ;   in Loop: Header=BB46_63 Depth=2
	global_load_dword v6, v4, s[22:23] offset:-228
	s_add_u32 s66, s22, 0xffffff1c
	s_addc_u32 s67, s23, -1
	s_add_u32 s30, s18, 0xffffffc7
	s_addc_u32 s31, s19, -1
	global_store_dwordx2 v4, v[2:3], s[20:21] offset:456
	s_add_u32 s20, s20, 0xfffffe38
	s_addc_u32 s21, s21, -1
	s_cmpk_lt_i32 s18, 0x72
	s_mov_b64 s[24:25], 0
	s_mov_b64 s[18:19], s[30:31]
	s_cselect_b64 s[62:63], -1, 0
	s_waitcnt vmcnt(1)
	global_store_dword v4, v6, s[22:23]
	s_mov_b64 s[22:23], s[66:67]
	s_andn2_b64 vcc, exec, s[62:63]
	s_cbranch_vccz .LBB46_65
.LBB46_63:                              ;   Parent Loop BB46_61 Depth=1
                                        ; =>  This Inner Loop Header: Depth=2
	global_load_dwordx2 v[2:3], v4, s[20:21]
	s_mov_b64 s[24:25], -1
	s_waitcnt vmcnt(0)
	v_cmp_nlt_f64_e32 vcc, v[2:3], v[0:1]
	s_cbranch_vccz .LBB46_62
; %bb.64:                               ;   in Loop: Header=BB46_61 Depth=1
                                        ; implicit-def: $sgpr22_sgpr23
                                        ; implicit-def: $sgpr20_sgpr21
                                        ; implicit-def: $sgpr30_sgpr31
.LBB46_65:                              ;   in Loop: Header=BB46_61 Depth=1
	s_andn2_b64 vcc, exec, s[24:25]
	s_cbranch_vccz .LBB46_60
; %bb.66:                               ;   in Loop: Header=BB46_61 Depth=1
	s_bfe_i64 s[18:19], s[30:31], 0x200000
	s_branch .LBB46_60
.LBB46_67:
	s_cmp_lt_i32 s48, 24
	s_cbranch_scc1 .LBB46_76
; %bb.68:
	s_add_u32 s10, s56, 0x5c
	s_addc_u32 s11, s57, 0
	s_mov_b64 s[12:13], 23
	s_mov_b32 s15, 0
	v_mov_b32_e32 v4, 0
	s_mov_b64 s[16:17], s[36:37]
	s_branch .LBB46_70
.LBB46_69:                              ;   in Loop: Header=BB46_70 Depth=1
	s_lshl_b64 s[20:21], s[18:19], 3
	s_add_u32 s20, s36, s20
	s_addc_u32 s21, s37, s21
	s_lshl_b64 s[18:19], s[18:19], 2
	s_add_u32 s18, s56, s18
	s_addc_u32 s19, s57, s19
	s_add_u32 s12, s12, 1
	s_addc_u32 s13, s13, 0
	;; [unrolled: 2-line block ×4, first 2 shown]
	s_cmp_lg_u32 s12, s48
	global_store_dwordx2 v4, v[0:1], s[20:21]
	global_store_dword v4, v5, s[18:19]
	s_cbranch_scc0 .LBB46_76
.LBB46_70:                              ; =>This Loop Header: Depth=1
                                        ;     Child Loop BB46_72 Depth 2
	s_mov_b32 s14, s12
	s_lshl_b64 s[18:19], s[14:15], 3
	s_add_u32 s18, s36, s18
	s_addc_u32 s19, s37, s19
	s_lshl_b64 s[20:21], s[14:15], 2
	s_add_u32 s20, s56, s20
	s_addc_u32 s21, s57, s21
	global_load_dwordx2 v[0:1], v4, s[18:19]
	global_load_dword v5, v4, s[20:21]
	s_mov_b64 s[20:21], s[16:17]
	s_mov_b64 s[22:23], s[10:11]
	;; [unrolled: 1-line block ×3, first 2 shown]
	s_branch .LBB46_72
.LBB46_71:                              ;   in Loop: Header=BB46_72 Depth=2
	global_load_dword v6, v4, s[22:23] offset:-92
	s_add_u32 s66, s22, 0xffffffa4
	s_addc_u32 s67, s23, -1
	s_add_u32 s30, s18, 0xffffffe9
	s_addc_u32 s31, s19, -1
	global_store_dwordx2 v4, v[2:3], s[20:21] offset:184
	s_add_u32 s20, s20, 0xffffff48
	s_addc_u32 s21, s21, -1
	s_cmp_lt_i32 s18, 46
	s_mov_b64 s[24:25], 0
	s_mov_b64 s[18:19], s[30:31]
	s_cselect_b64 s[62:63], -1, 0
	s_waitcnt vmcnt(1)
	global_store_dword v4, v6, s[22:23]
	s_mov_b64 s[22:23], s[66:67]
	s_andn2_b64 vcc, exec, s[62:63]
	s_cbranch_vccz .LBB46_74
.LBB46_72:                              ;   Parent Loop BB46_70 Depth=1
                                        ; =>  This Inner Loop Header: Depth=2
	global_load_dwordx2 v[2:3], v4, s[20:21]
	s_mov_b64 s[24:25], -1
	s_waitcnt vmcnt(0)
	v_cmp_nlt_f64_e32 vcc, v[2:3], v[0:1]
	s_cbranch_vccz .LBB46_71
; %bb.73:                               ;   in Loop: Header=BB46_70 Depth=1
                                        ; implicit-def: $sgpr22_sgpr23
                                        ; implicit-def: $sgpr20_sgpr21
                                        ; implicit-def: $sgpr30_sgpr31
.LBB46_74:                              ;   in Loop: Header=BB46_70 Depth=1
	s_andn2_b64 vcc, exec, s[24:25]
	s_cbranch_vccz .LBB46_69
; %bb.75:                               ;   in Loop: Header=BB46_70 Depth=1
	s_bfe_i64 s[18:19], s[30:31], 0x200000
	s_branch .LBB46_69
.LBB46_76:
	s_cmp_lt_i32 s48, 11
	s_cbranch_scc1 .LBB46_85
; %bb.77:
	s_add_u32 s10, s56, 40
	s_addc_u32 s11, s57, 0
	s_mov_b64 s[12:13], 10
	s_mov_b32 s15, 0
	v_mov_b32_e32 v4, 0
	s_mov_b64 s[16:17], s[36:37]
	s_branch .LBB46_79
.LBB46_78:                              ;   in Loop: Header=BB46_79 Depth=1
	s_lshl_b64 s[20:21], s[18:19], 3
	s_add_u32 s20, s36, s20
	s_addc_u32 s21, s37, s21
	s_lshl_b64 s[18:19], s[18:19], 2
	s_add_u32 s18, s56, s18
	s_addc_u32 s19, s57, s19
	s_add_u32 s12, s12, 1
	s_addc_u32 s13, s13, 0
	;; [unrolled: 2-line block ×4, first 2 shown]
	s_cmp_lg_u32 s12, s48
	global_store_dwordx2 v4, v[0:1], s[20:21]
	global_store_dword v4, v5, s[18:19]
	s_cbranch_scc0 .LBB46_85
.LBB46_79:                              ; =>This Loop Header: Depth=1
                                        ;     Child Loop BB46_81 Depth 2
	s_mov_b32 s14, s12
	s_lshl_b64 s[18:19], s[14:15], 3
	s_add_u32 s18, s36, s18
	s_addc_u32 s19, s37, s19
	s_lshl_b64 s[20:21], s[14:15], 2
	s_add_u32 s20, s56, s20
	s_addc_u32 s21, s57, s21
	global_load_dwordx2 v[0:1], v4, s[18:19]
	global_load_dword v5, v4, s[20:21]
	s_mov_b64 s[20:21], s[16:17]
	s_mov_b64 s[22:23], s[10:11]
	;; [unrolled: 1-line block ×3, first 2 shown]
	s_branch .LBB46_81
.LBB46_80:                              ;   in Loop: Header=BB46_81 Depth=2
	global_load_dword v6, v4, s[22:23] offset:-40
	s_add_u32 s66, s22, 0xffffffd8
	s_addc_u32 s67, s23, -1
	s_add_u32 s30, s18, -10
	s_addc_u32 s31, s19, -1
	global_store_dwordx2 v4, v[2:3], s[20:21] offset:80
	s_add_u32 s20, s20, 0xffffffb0
	s_addc_u32 s21, s21, -1
	s_cmp_lt_i32 s18, 20
	s_mov_b64 s[24:25], 0
	s_mov_b64 s[18:19], s[30:31]
	s_cselect_b64 s[62:63], -1, 0
	s_waitcnt vmcnt(1)
	global_store_dword v4, v6, s[22:23]
	s_mov_b64 s[22:23], s[66:67]
	s_andn2_b64 vcc, exec, s[62:63]
	s_cbranch_vccz .LBB46_83
.LBB46_81:                              ;   Parent Loop BB46_79 Depth=1
                                        ; =>  This Inner Loop Header: Depth=2
	global_load_dwordx2 v[2:3], v4, s[20:21]
	s_mov_b64 s[24:25], -1
	s_waitcnt vmcnt(0)
	v_cmp_nlt_f64_e32 vcc, v[2:3], v[0:1]
	s_cbranch_vccz .LBB46_80
; %bb.82:                               ;   in Loop: Header=BB46_79 Depth=1
                                        ; implicit-def: $sgpr22_sgpr23
                                        ; implicit-def: $sgpr20_sgpr21
                                        ; implicit-def: $sgpr30_sgpr31
.LBB46_83:                              ;   in Loop: Header=BB46_79 Depth=1
	s_andn2_b64 vcc, exec, s[24:25]
	s_cbranch_vccz .LBB46_78
; %bb.84:                               ;   in Loop: Header=BB46_79 Depth=1
	s_bfe_i64 s[18:19], s[30:31], 0x200000
	s_branch .LBB46_78
.LBB46_85:
	s_cmp_lt_i32 s48, 5
	s_cbranch_scc1 .LBB46_94
; %bb.86:
	s_add_u32 s10, s56, 16
	s_addc_u32 s11, s57, 0
	s_add_u32 s12, s54, s52
	s_addc_u32 s13, s55, s53
	;; [unrolled: 2-line block ×3, first 2 shown]
	s_mov_b64 s[14:15], 4
	s_mov_b32 s17, 0
	v_mov_b32_e32 v4, 0
	s_branch .LBB46_88
.LBB46_87:                              ;   in Loop: Header=BB46_88 Depth=1
	s_lshl_b64 s[20:21], s[18:19], 3
	s_add_u32 s20, s36, s20
	s_addc_u32 s21, s37, s21
	s_lshl_b64 s[18:19], s[18:19], 2
	s_add_u32 s18, s56, s18
	s_addc_u32 s19, s57, s19
	s_add_u32 s14, s14, 1
	s_addc_u32 s15, s15, 0
	;; [unrolled: 2-line block ×4, first 2 shown]
	s_cmp_lg_u32 s14, s48
	global_store_dwordx2 v4, v[0:1], s[20:21]
	global_store_dword v4, v5, s[18:19]
	s_cbranch_scc0 .LBB46_94
.LBB46_88:                              ; =>This Loop Header: Depth=1
                                        ;     Child Loop BB46_90 Depth 2
	s_mov_b32 s16, s14
	s_lshl_b64 s[18:19], s[16:17], 3
	s_add_u32 s18, s36, s18
	s_addc_u32 s19, s37, s19
	s_lshl_b64 s[20:21], s[16:17], 2
	s_add_u32 s20, s56, s20
	s_addc_u32 s21, s57, s21
	global_load_dwordx2 v[0:1], v4, s[18:19]
	global_load_dword v5, v4, s[20:21]
	s_mov_b64 s[22:23], s[12:13]
	s_mov_b64 s[20:21], s[10:11]
	;; [unrolled: 1-line block ×3, first 2 shown]
	s_branch .LBB46_90
.LBB46_89:                              ;   in Loop: Header=BB46_90 Depth=2
	global_load_dword v6, v4, s[20:21] offset:-16
	s_mov_b64 s[24:25], 0
	global_store_dwordx2 v4, v[2:3], s[22:23]
	s_add_u32 s22, s20, -16
	s_addc_u32 s23, s21, -1
	s_add_u32 s30, s18, -4
	s_addc_u32 s31, s19, -1
	s_cmp_lt_i32 s18, 8
	s_mov_b64 s[18:19], s[30:31]
	s_cselect_b64 s[66:67], -1, 0
	s_waitcnt vmcnt(1)
	global_store_dword v4, v6, s[20:21]
	s_mov_b64 s[20:21], s[22:23]
	s_mov_b64 s[22:23], s[62:63]
	s_andn2_b64 vcc, exec, s[66:67]
	s_cbranch_vccz .LBB46_92
.LBB46_90:                              ;   Parent Loop BB46_88 Depth=1
                                        ; =>  This Inner Loop Header: Depth=2
	global_load_dwordx2 v[2:3], v4, s[22:23] offset:-32
	s_add_u32 s62, s22, 0xffffffe0
	s_addc_u32 s63, s23, -1
	s_mov_b64 s[24:25], -1
	s_waitcnt vmcnt(0)
	v_cmp_nlt_f64_e32 vcc, v[2:3], v[0:1]
	s_cbranch_vccz .LBB46_89
; %bb.91:                               ;   in Loop: Header=BB46_88 Depth=1
                                        ; implicit-def: $sgpr20_sgpr21
                                        ; implicit-def: $sgpr22_sgpr23
                                        ; implicit-def: $sgpr30_sgpr31
.LBB46_92:                              ;   in Loop: Header=BB46_88 Depth=1
	s_andn2_b64 vcc, exec, s[24:25]
	s_cbranch_vccz .LBB46_87
; %bb.93:                               ;   in Loop: Header=BB46_88 Depth=1
	s_bfe_i64 s[18:19], s[30:31], 0x200000
	s_branch .LBB46_87
.LBB46_94:
	s_cmp_lt_i32 s48, 2
	s_cbranch_scc1 .LBB46_101
; %bb.95:
	s_add_u32 s10, s56, 4
	s_addc_u32 s11, s57, 0
	s_add_u32 s12, s54, s52
	s_addc_u32 s13, s55, s53
	;; [unrolled: 2-line block ×3, first 2 shown]
	s_mov_b64 s[14:15], 1
	s_mov_b32 s17, 0
	v_mov_b32_e32 v4, 0
	s_branch .LBB46_97
.LBB46_96:                              ;   in Loop: Header=BB46_97 Depth=1
	s_lshl_b64 s[18:19], s[24:25], 3
	s_add_u32 s18, s36, s18
	s_addc_u32 s19, s37, s19
	global_store_dwordx2 v4, v[0:1], s[18:19]
	s_lshl_b64 s[18:19], s[24:25], 2
	s_add_u32 s18, s56, s18
	s_addc_u32 s19, s57, s19
	s_add_u32 s14, s14, 1
	s_addc_u32 s15, s15, 0
	;; [unrolled: 2-line block ×4, first 2 shown]
	s_cmp_eq_u32 s14, s48
	global_store_dword v4, v5, s[18:19]
	s_cbranch_scc1 .LBB46_101
.LBB46_97:                              ; =>This Loop Header: Depth=1
                                        ;     Child Loop BB46_99 Depth 2
	s_mov_b32 s16, s14
	s_lshl_b64 s[18:19], s[16:17], 3
	s_add_u32 s18, s36, s18
	s_addc_u32 s19, s37, s19
	s_lshl_b64 s[20:21], s[16:17], 2
	s_add_u32 s20, s56, s20
	s_addc_u32 s21, s57, s21
	global_load_dwordx2 v[0:1], v4, s[18:19]
	global_load_dword v5, v4, s[20:21]
	s_mov_b64 s[22:23], s[12:13]
	s_mov_b64 s[18:19], s[10:11]
	s_mov_b64 s[20:21], s[14:15]
	s_branch .LBB46_99
.LBB46_98:                              ;   in Loop: Header=BB46_99 Depth=2
	global_load_dword v6, v4, s[18:19] offset:-4
	s_mov_b64 s[24:25], 0
	global_store_dwordx2 v4, v[2:3], s[22:23]
	s_add_u32 s22, s18, -4
	s_addc_u32 s23, s19, -1
	s_add_u32 s62, s20, -1
	s_addc_u32 s63, s21, -1
	s_cmp_lt_i32 s20, 2
	s_mov_b64 s[20:21], s[62:63]
	s_cselect_b64 s[62:63], -1, 0
	s_waitcnt vmcnt(1)
	global_store_dword v4, v6, s[18:19]
	s_mov_b64 s[18:19], s[22:23]
	s_mov_b64 s[22:23], s[30:31]
	s_andn2_b64 vcc, exec, s[62:63]
	s_cbranch_vccz .LBB46_96
.LBB46_99:                              ;   Parent Loop BB46_97 Depth=1
                                        ; =>  This Inner Loop Header: Depth=2
	global_load_dwordx2 v[2:3], v4, s[22:23] offset:-8
	s_add_u32 s30, s22, -8
	s_addc_u32 s31, s23, -1
	s_mov_b64 s[62:63], -1
	s_waitcnt vmcnt(0)
	v_cmp_nlt_f64_e32 vcc, v[2:3], v[0:1]
	s_cbranch_vccz .LBB46_98
; %bb.100:                              ;   in Loop: Header=BB46_99 Depth=2
                                        ; implicit-def: $sgpr18_sgpr19
                                        ; implicit-def: $sgpr22_sgpr23
	s_mov_b64 s[24:25], s[20:21]
	s_andn2_b64 vcc, exec, s[62:63]
	s_cbranch_vccnz .LBB46_99
	s_branch .LBB46_96
.LBB46_101:
	s_or_b64 exec, exec, s[8:9]
	s_cmp_lt_i32 s48, 2
	s_cselect_b64 s[12:13], -1, 0
	s_mov_b64 s[66:67], 0
	s_and_b64 vcc, exec, s[12:13]
	s_barrier
	s_cbranch_vccnz .LBB46_109
; %bb.102:
	s_add_i32 s22, s48, -1
	v_cmp_gt_u32_e32 vcc, s22, v41
	s_mov_b64 s[12:13], -1
	s_mov_b64 s[8:9], 0
	s_and_saveexec_b64 s[10:11], vcc
	s_cbranch_execz .LBB46_111
; %bb.103:
	s_add_u32 s23, s36, 8
	s_addc_u32 s24, s37, 0
	s_mov_b64 s[12:13], 0
	v_mov_b32_e32 v1, 0
	v_mov_b32_e32 v4, s37
	;; [unrolled: 1-line block ×3, first 2 shown]
                                        ; implicit-def: $sgpr14_sgpr15
	s_branch .LBB46_105
.LBB46_104:                             ;   in Loop: Header=BB46_105 Depth=1
	s_or_b64 exec, exec, s[20:21]
	s_xor_b64 s[16:17], s[16:17], -1
	s_and_b64 s[8:9], exec, s[8:9]
	s_or_b64 s[12:13], s[8:9], s[12:13]
	s_andn2_b64 s[8:9], s[14:15], exec
	s_and_b64 s[14:15], s[16:17], exec
	s_or_b64 s[14:15], s[8:9], s[14:15]
	s_andn2_b64 exec, exec, s[12:13]
	s_cbranch_execz .LBB46_110
.LBB46_105:                             ; =>This Inner Loop Header: Depth=1
	v_lshlrev_b64 v[2:3], 3, v[0:1]
	v_add_co_u32_e32 v2, vcc, s36, v2
	v_addc_co_u32_e32 v3, vcc, v4, v3, vcc
	global_load_dwordx2 v[2:3], v[2:3], off
                                        ; implicit-def: $sgpr16_sgpr17
	s_waitcnt vmcnt(0)
	v_cmp_u_f64_e64 s[18:19], v[2:3], v[2:3]
	v_cmp_o_f64_e32 vcc, v[2:3], v[2:3]
	s_and_saveexec_b64 s[20:21], vcc
	s_cbranch_execz .LBB46_107
; %bb.106:                              ;   in Loop: Header=BB46_105 Depth=1
	v_ashrrev_i32_e32 v7, 31, v0
	v_mov_b32_e32 v6, v0
	v_lshlrev_b64 v[6:7], 3, v[6:7]
	v_mov_b32_e32 v5, s24
	v_add_co_u32_e32 v6, vcc, s23, v6
	v_addc_co_u32_e32 v7, vcc, v5, v7, vcc
	global_load_dwordx2 v[6:7], v[6:7], off
	s_andn2_b64 s[18:19], s[18:19], exec
	s_mov_b64 s[16:17], -1
	s_waitcnt vmcnt(0)
	v_cmp_u_f64_e32 vcc, v[6:7], v[6:7]
	v_cmp_ge_f64_e64 s[8:9], v[2:3], v[6:7]
	s_or_b64 s[8:9], vcc, s[8:9]
	s_and_b64 s[8:9], s[8:9], exec
	s_or_b64 s[18:19], s[18:19], s[8:9]
.LBB46_107:                             ;   in Loop: Header=BB46_105 Depth=1
	s_or_b64 exec, exec, s[20:21]
	s_mov_b64 s[8:9], -1
	s_and_saveexec_b64 s[20:21], s[18:19]
	s_cbranch_execz .LBB46_104
; %bb.108:                              ;   in Loop: Header=BB46_105 Depth=1
	v_add_u32_e32 v0, s60, v0
	v_cmp_le_u32_e32 vcc, s22, v0
	s_andn2_b64 s[16:17], s[16:17], exec
	s_orn2_b64 s[8:9], vcc, exec
	s_branch .LBB46_104
.LBB46_109:
	s_mov_b64 s[8:9], 0
	s_branch .LBB46_112
.LBB46_110:
	s_or_b64 exec, exec, s[12:13]
	s_mov_b64 s[8:9], exec
	s_orn2_b64 s[12:13], s[14:15], exec
.LBB46_111:
	s_or_b64 exec, exec, s[10:11]
.LBB46_112:
	s_and_saveexec_b64 s[10:11], s[12:13]
	s_cbranch_execz .LBB46_114
; %bb.113:
	s_mov_b64 s[66:67], exec
	s_barrier
	s_andn2_b64 s[8:9], s[8:9], exec
.LBB46_114:
	s_or_b64 exec, exec, s[10:11]
	s_mov_b64 s[62:63], 0
	s_and_saveexec_b64 s[68:69], s[8:9]
	s_cbranch_execz .LBB46_116
; %bb.115:
	s_add_u32 s8, s6, 0x90
	s_addc_u32 s9, s7, 0
	s_getpc_b64 s[10:11]
	s_add_u32 s10, s10, __PRETTY_FUNCTION__._ZN9rocsolver6v33100L21shell_sort_descendingIdiEEvT0_PT_PS2_@rel32@lo+4
	s_addc_u32 s11, s11, __PRETTY_FUNCTION__._ZN9rocsolver6v33100L21shell_sort_descendingIdiEEvT0_PT_PS2_@rel32@hi+12
	v_mov_b32_e32 v0, s10
	v_mov_b32_e32 v1, s11
	s_getpc_b64 s[12:13]
	s_add_u32 s12, s12, __assert_fail@rel32@lo+4
	s_addc_u32 s13, s13, __assert_fail@rel32@hi+12
	s_mov_b64 s[62:63], s[6:7]
	s_mov_b64 s[70:71], s[4:5]
	s_swappc_b64 s[30:31], s[12:13]
	s_mov_b64 s[4:5], s[70:71]
	s_mov_b64 s[6:7], s[62:63]
	s_mov_b64 s[62:63], exec
.LBB46_116:
	s_or_b64 exec, exec, s[68:69]
.LBB46_117:
	s_and_saveexec_b64 s[18:19], s[66:67]
	s_cbranch_execz .LBB46_141
; %bb.118:
	s_andn2_b64 vcc, exec, s[64:65]
	s_barrier
	s_cbranch_vccnz .LBB46_140
; %bb.119:
	s_load_dwordx2 s[10:11], s[4:5], 0x4
	s_mov_b32 s21, 0
	v_cmp_eq_u32_e64 s[4:5], 0, v41
	v_cmp_gt_u32_e64 s[8:9], s49, v41
	s_mov_b32 s72, s47
	s_waitcnt lgkmcnt(0)
	s_lshr_b32 s10, s10, 16
	s_mul_i32 s10, s10, s11
	s_cmp_gt_i32 s49, 0
	v_mul_lo_u32 v0, s10, v42
	s_cselect_b64 s[14:15], -1, 0
	s_ashr_i32 s33, s47, 31
	v_mad_u32_u24 v0, v43, s11, v0
	s_cmp_gt_i32 s50, 0
	v_add_lshl_u32 v2, v0, v44, 4
	s_cselect_b64 s[16:17], -1, 0
	v_cndmask_b32_e64 v0, 0, 1, s[14:15]
	s_cmp_gt_i32 s51, 0
	v_cmp_ne_u32_e64 s[14:15], 1, v0
	v_cndmask_b32_e64 v0, 0, 1, s[16:17]
	v_add_u32_e32 v3, 0x4000, v2
	v_cmp_gt_u32_e64 s[10:11], s50, v41
	s_mov_b32 s73, s43
	s_cselect_b64 s[22:23], -1, 0
	v_cmp_gt_u32_e64 s[12:13], s51, v41
	s_ashr_i32 s74, s61, 31
	s_mov_b32 s75, s61
	v_mov_b32_e32 v1, 0
	v_cmp_ne_u32_e64 s[16:17], 1, v0
	s_mov_b32 s20, s21
	s_branch .LBB46_121
.LBB46_120:                             ;   in Loop: Header=BB46_121 Depth=1
	s_add_i32 s20, s20, 1
	s_cmp_eq_u32 s20, s48
	s_cbranch_scc1 .LBB46_140
.LBB46_121:                             ; =>This Loop Header: Depth=1
                                        ;     Child Loop BB46_124 Depth 2
                                        ;       Child Loop BB46_129 Depth 3
                                        ;       Child Loop BB46_134 Depth 3
	;; [unrolled: 1-line block ×3, first 2 shown]
	s_lshl_b64 s[24:25], s[20:21], 2
	s_add_u32 s24, s56, s24
	s_addc_u32 s25, s57, s25
	global_load_dword v0, v1, s[24:25]
	s_waitcnt vmcnt(0)
	v_cmp_eq_u32_e32 vcc, s20, v0
	v_readfirstlane_b32 s30, v0
	s_cbranch_vccz .LBB46_124
	s_branch .LBB46_120
.LBB46_122:                             ;   in Loop: Header=BB46_124 Depth=2
	s_or_b64 exec, exec, s[64:65]
	s_waitcnt lgkmcnt(0)
	s_barrier
.LBB46_123:                             ;   in Loop: Header=BB46_124 Depth=2
	global_load_dword v0, v1, s[24:25]
	s_waitcnt vmcnt(0)
	v_cmp_ne_u32_e32 vcc, s20, v0
	v_readfirstlane_b32 s30, v0
	s_cbranch_vccz .LBB46_120
.LBB46_124:                             ;   Parent Loop BB46_121 Depth=1
                                        ; =>  This Loop Header: Depth=2
                                        ;       Child Loop BB46_129 Depth 3
                                        ;       Child Loop BB46_134 Depth 3
	;; [unrolled: 1-line block ×3, first 2 shown]
	s_ashr_i32 s31, s30, 31
	s_lshl_b64 s[58:59], s[30:31], 2
	s_add_u32 s64, s56, s58
	s_addc_u32 s65, s57, s59
	global_load_dword v0, v1, s[64:65]
	s_barrier
	s_waitcnt vmcnt(0)
	v_readfirstlane_b32 s58, v0
	s_and_saveexec_b64 s[66:67], s[4:5]
	s_cbranch_execz .LBB46_126
; %bb.125:                              ;   in Loop: Header=BB46_124 Depth=2
	v_mov_b32_e32 v0, s30
	global_store_dword v1, v0, s[64:65]
	v_mov_b32_e32 v0, s58
	global_store_dword v1, v0, s[24:25]
.LBB46_126:                             ;   in Loop: Header=BB46_124 Depth=2
	s_or_b64 exec, exec, s[66:67]
	s_and_b64 vcc, exec, s[14:15]
	s_barrier
	s_cbranch_vccnz .LBB46_131
; %bb.127:                              ;   in Loop: Header=BB46_124 Depth=2
	s_and_saveexec_b64 s[64:65], s[8:9]
	s_cbranch_execz .LBB46_130
; %bb.128:                              ;   in Loop: Header=BB46_124 Depth=2
	s_ashr_i32 s59, s58, 31
	s_mov_b64 s[66:67], 0
	s_lshl_b64 s[68:69], s[30:31], 4
	s_lshl_b64 s[70:71], s[58:59], 4
	v_mov_b32_e32 v0, v41
.LBB46_129:                             ;   Parent Loop BB46_121 Depth=1
                                        ;     Parent Loop BB46_124 Depth=2
                                        ; =>    This Inner Loop Header: Depth=3
	v_mad_u64_u32 v[4:5], s[76:77], v0, s72, 0
	v_mov_b32_e32 v6, v5
	v_mad_u64_u32 v[6:7], s[76:77], v0, s33, v[6:7]
	v_mov_b32_e32 v5, v6
	v_lshlrev_b64 v[4:5], 4, v[4:5]
	v_mov_b32_e32 v8, s35
	v_add_co_u32_e32 v4, vcc, s34, v4
	v_addc_co_u32_e32 v5, vcc, v8, v5, vcc
	v_mov_b32_e32 v9, s69
	v_add_co_u32_e32 v12, vcc, s68, v4
	v_addc_co_u32_e32 v13, vcc, v5, v9, vcc
	;; [unrolled: 3-line block ×3, first 2 shown]
	flat_load_dwordx4 v[4:7], v[14:15]
	flat_load_dwordx4 v[8:11], v[12:13]
	v_add_u32_e32 v0, s60, v0
	v_cmp_le_u32_e32 vcc, s49, v0
	s_or_b64 s[66:67], vcc, s[66:67]
	s_waitcnt vmcnt(0) lgkmcnt(0)
	flat_store_dwordx4 v[12:13], v[4:7]
	flat_store_dwordx4 v[14:15], v[8:11]
	s_andn2_b64 exec, exec, s[66:67]
	s_cbranch_execnz .LBB46_129
.LBB46_130:                             ;   in Loop: Header=BB46_124 Depth=2
	s_or_b64 exec, exec, s[64:65]
	s_waitcnt lgkmcnt(0)
	s_barrier
.LBB46_131:                             ;   in Loop: Header=BB46_124 Depth=2
	s_and_b64 vcc, exec, s[16:17]
	s_cbranch_vccnz .LBB46_136
; %bb.132:                              ;   in Loop: Header=BB46_124 Depth=2
	s_and_saveexec_b64 s[64:65], s[10:11]
	s_cbranch_execz .LBB46_135
; %bb.133:                              ;   in Loop: Header=BB46_124 Depth=2
	s_mul_hi_i32 s67, s30, s73
	s_mul_i32 s66, s30, s73
	s_lshl_b64 s[66:67], s[66:67], 4
	s_add_u32 s59, s28, s66
	s_addc_u32 s69, s29, s67
	s_mul_hi_i32 s67, s58, s73
	s_mul_i32 s66, s58, s73
	s_lshl_b64 s[66:67], s[66:67], 4
	s_add_u32 s68, s28, s66
	s_addc_u32 s70, s29, s67
	s_mov_b64 s[66:67], 0
	v_mov_b32_e32 v4, s69
	v_mov_b32_e32 v5, s70
	;; [unrolled: 1-line block ×3, first 2 shown]
.LBB46_134:                             ;   Parent Loop BB46_121 Depth=1
                                        ;     Parent Loop BB46_124 Depth=2
                                        ; =>    This Inner Loop Header: Depth=3
	v_lshlrev_b64 v[10:11], 4, v[0:1]
	v_add_co_u32_e32 v12, vcc, s59, v10
	v_addc_co_u32_e32 v13, vcc, v4, v11, vcc
	flat_load_dwordx4 v[6:9], v[12:13]
	v_add_co_u32_e32 v10, vcc, s68, v10
	v_addc_co_u32_e32 v11, vcc, v5, v11, vcc
	v_add_u32_e32 v0, s60, v0
	v_cmp_le_u32_e32 vcc, s50, v0
	s_or_b64 s[66:67], vcc, s[66:67]
	s_waitcnt vmcnt(0) lgkmcnt(0)
	ds_write2_b64 v2, v[6:7], v[8:9] offset1:1
	flat_load_dwordx4 v[6:9], v[10:11]
	s_waitcnt vmcnt(0) lgkmcnt(0)
	flat_store_dwordx4 v[12:13], v[6:9]
	ds_read2_b64 v[6:9], v2 offset1:1
	s_waitcnt lgkmcnt(0)
	flat_store_dwordx4 v[10:11], v[6:9]
	s_andn2_b64 exec, exec, s[66:67]
	s_cbranch_execnz .LBB46_134
.LBB46_135:                             ;   in Loop: Header=BB46_124 Depth=2
	s_or_b64 exec, exec, s[64:65]
	s_waitcnt lgkmcnt(0)
	s_barrier
.LBB46_136:                             ;   in Loop: Header=BB46_124 Depth=2
	s_andn2_b64 vcc, exec, s[22:23]
	s_cbranch_vccnz .LBB46_123
; %bb.137:                              ;   in Loop: Header=BB46_124 Depth=2
	s_and_saveexec_b64 s[64:65], s[12:13]
	s_cbranch_execz .LBB46_122
; %bb.138:                              ;   in Loop: Header=BB46_124 Depth=2
	s_ashr_i32 s59, s58, 31
	s_mov_b64 s[66:67], 0
	s_lshl_b64 s[58:59], s[58:59], 4
	v_mov_b32_e32 v0, v41
.LBB46_139:                             ;   Parent Loop BB46_121 Depth=1
                                        ;     Parent Loop BB46_124 Depth=2
                                        ; =>    This Inner Loop Header: Depth=3
	v_mad_u64_u32 v[4:5], s[68:69], v0, s75, 0
	v_mov_b32_e32 v6, v5
	v_mad_u64_u32 v[6:7], s[70:71], v0, s74, v[6:7]
	v_mov_b32_e32 v5, v6
	v_lshlrev_b64 v[4:5], 4, v[4:5]
	v_mov_b32_e32 v8, s45
	v_add_co_u32_e32 v10, vcc, s44, v4
	s_lshl_b64 s[68:69], s[30:31], 4
	v_addc_co_u32_e32 v11, vcc, v8, v5, vcc
	v_mov_b32_e32 v9, s69
	v_add_co_u32_e32 v8, vcc, s68, v10
	v_addc_co_u32_e32 v9, vcc, v11, v9, vcc
	flat_load_dwordx4 v[4:7], v[8:9]
	v_mov_b32_e32 v12, s59
	v_add_co_u32_e32 v10, vcc, s58, v10
	v_addc_co_u32_e32 v11, vcc, v11, v12, vcc
	v_add_u32_e32 v0, s60, v0
	v_cmp_le_u32_e32 vcc, s51, v0
	s_or_b64 s[66:67], vcc, s[66:67]
	s_waitcnt vmcnt(0) lgkmcnt(0)
	ds_write2_b64 v3, v[4:5], v[6:7] offset1:1
	flat_load_dwordx4 v[4:7], v[10:11]
	s_waitcnt vmcnt(0) lgkmcnt(0)
	flat_store_dwordx4 v[8:9], v[4:7]
	ds_read2_b64 v[4:7], v3 offset1:1
	s_waitcnt lgkmcnt(0)
	flat_store_dwordx4 v[10:11], v[4:7]
	s_andn2_b64 exec, exec, s[66:67]
	s_cbranch_execnz .LBB46_139
	s_branch .LBB46_122
.LBB46_140:
	s_mov_b64 s[58:59], exec
.LBB46_141:
	s_or_b64 exec, exec, s[18:19]
	s_branch .LBB46_228
.LBB46_142:
	s_mov_b64 s[58:59], -1
	s_and_b64 vcc, exec, s[40:41]
	s_cbranch_vccz .LBB46_228
; %bb.143:
	v_or3_b32 v0, v43, v44, v42
	v_cmp_eq_u32_e32 vcc, 0, v0
	s_barrier
	s_barrier
	s_and_saveexec_b64 s[4:5], vcc
	s_cbranch_execz .LBB46_212
; %bb.144:
	s_cmpk_lt_u32 s48, 0x2be
	s_cbranch_scc1 .LBB46_151
; %bb.145:
	s_mov_b64 s[8:9], 0x2bd
	s_mov_b32 s11, 0
	v_mov_b32_e32 v4, 0
	v_mov_b32_e32 v5, 0x1000
	s_mov_b64 s[12:13], s[36:37]
	s_branch .LBB46_147
.LBB46_146:                             ;   in Loop: Header=BB46_147 Depth=1
	s_lshl_b64 s[14:15], s[18:19], 3
	s_add_u32 s14, s36, s14
	s_addc_u32 s15, s37, s15
	s_add_u32 s8, s8, 1
	s_addc_u32 s9, s9, 0
	;; [unrolled: 2-line block ×3, first 2 shown]
	s_cmp_eq_u32 s8, s48
	global_store_dwordx2 v4, v[0:1], s[14:15]
	s_cbranch_scc1 .LBB46_151
.LBB46_147:                             ; =>This Loop Header: Depth=1
                                        ;     Child Loop BB46_149 Depth 2
	s_mov_b32 s10, s8
	s_lshl_b64 s[14:15], s[10:11], 3
	s_add_u32 s14, s36, s14
	s_addc_u32 s15, s37, s15
	global_load_dwordx2 v[0:1], v4, s[14:15]
	s_mov_b64 s[14:15], s[12:13]
	s_mov_b64 s[16:17], s[8:9]
	s_branch .LBB46_149
.LBB46_148:                             ;   in Loop: Header=BB46_149 Depth=2
	s_add_u32 s18, s16, 0xfffffd43
	s_addc_u32 s19, s17, -1
	global_store_dwordx2 v5, v[2:3], s[14:15] offset:1512
	s_add_u32 s14, s14, 0xffffea18
	s_addc_u32 s15, s15, -1
	s_cmpk_lt_i32 s16, 0x57a
	s_cselect_b64 s[20:21], -1, 0
	s_mov_b64 s[16:17], s[18:19]
	s_andn2_b64 vcc, exec, s[20:21]
	s_cbranch_vccz .LBB46_146
.LBB46_149:                             ;   Parent Loop BB46_147 Depth=1
                                        ; =>  This Inner Loop Header: Depth=2
	global_load_dwordx2 v[2:3], v4, s[14:15]
	s_mov_b64 s[20:21], -1
	s_waitcnt vmcnt(0)
	v_cmp_nlt_f64_e32 vcc, v[2:3], v[0:1]
	s_cbranch_vccz .LBB46_148
; %bb.150:                              ;   in Loop: Header=BB46_149 Depth=2
                                        ; implicit-def: $sgpr14_sgpr15
	s_mov_b64 s[18:19], s[16:17]
	s_andn2_b64 vcc, exec, s[20:21]
	s_cbranch_vccnz .LBB46_149
	s_branch .LBB46_146
.LBB46_151:
	s_cmpk_lt_i32 s48, 0x12e
	s_cbranch_scc1 .LBB46_160
; %bb.152:
	s_mov_b64 s[8:9], 0x12d
	s_mov_b32 s11, 0
	v_mov_b32_e32 v4, 0
	s_mov_b64 s[12:13], s[36:37]
	s_branch .LBB46_154
.LBB46_153:                             ;   in Loop: Header=BB46_154 Depth=1
	s_lshl_b64 s[14:15], s[14:15], 3
	s_add_u32 s14, s36, s14
	s_addc_u32 s15, s37, s15
	s_add_u32 s8, s8, 1
	s_addc_u32 s9, s9, 0
	;; [unrolled: 2-line block ×3, first 2 shown]
	s_cmp_lg_u32 s8, s48
	global_store_dwordx2 v4, v[0:1], s[14:15]
	s_cbranch_scc0 .LBB46_160
.LBB46_154:                             ; =>This Loop Header: Depth=1
                                        ;     Child Loop BB46_156 Depth 2
	s_mov_b32 s10, s8
	s_lshl_b64 s[14:15], s[10:11], 3
	s_add_u32 s14, s36, s14
	s_addc_u32 s15, s37, s15
	global_load_dwordx2 v[0:1], v4, s[14:15]
	s_mov_b64 s[16:17], s[12:13]
	s_mov_b64 s[14:15], s[8:9]
	s_branch .LBB46_156
.LBB46_155:                             ;   in Loop: Header=BB46_156 Depth=2
	s_add_u32 s18, s14, 0xfffffed3
	s_addc_u32 s19, s15, -1
	global_store_dwordx2 v4, v[2:3], s[16:17] offset:2408
	s_add_u32 s16, s16, 0xfffff698
	s_addc_u32 s17, s17, -1
	s_cmpk_lt_i32 s14, 0x25a
	s_mov_b64 s[20:21], 0
	s_cselect_b64 s[22:23], -1, 0
	s_mov_b64 s[14:15], s[18:19]
	s_andn2_b64 vcc, exec, s[22:23]
	s_cbranch_vccz .LBB46_158
.LBB46_156:                             ;   Parent Loop BB46_154 Depth=1
                                        ; =>  This Inner Loop Header: Depth=2
	global_load_dwordx2 v[2:3], v4, s[16:17]
	s_mov_b64 s[20:21], -1
	s_waitcnt vmcnt(0)
	v_cmp_nlt_f64_e32 vcc, v[2:3], v[0:1]
	s_cbranch_vccz .LBB46_155
; %bb.157:                              ;   in Loop: Header=BB46_154 Depth=1
                                        ; implicit-def: $sgpr16_sgpr17
                                        ; implicit-def: $sgpr18_sgpr19
.LBB46_158:                             ;   in Loop: Header=BB46_154 Depth=1
	s_andn2_b64 vcc, exec, s[20:21]
	s_cbranch_vccz .LBB46_153
; %bb.159:                              ;   in Loop: Header=BB46_154 Depth=1
	s_bfe_i64 s[14:15], s[18:19], 0x200000
	s_branch .LBB46_153
.LBB46_160:
	s_cmpk_lt_i32 s48, 0x85
	s_cbranch_scc1 .LBB46_169
; %bb.161:
	s_mov_b64 s[8:9], 0x84
	s_mov_b32 s11, 0
	v_mov_b32_e32 v4, 0
	s_mov_b64 s[12:13], s[36:37]
	s_branch .LBB46_163
.LBB46_162:                             ;   in Loop: Header=BB46_163 Depth=1
	s_lshl_b64 s[14:15], s[14:15], 3
	s_add_u32 s14, s36, s14
	s_addc_u32 s15, s37, s15
	s_add_u32 s8, s8, 1
	s_addc_u32 s9, s9, 0
	;; [unrolled: 2-line block ×3, first 2 shown]
	s_cmp_lg_u32 s8, s48
	global_store_dwordx2 v4, v[0:1], s[14:15]
	s_cbranch_scc0 .LBB46_169
.LBB46_163:                             ; =>This Loop Header: Depth=1
                                        ;     Child Loop BB46_165 Depth 2
	s_mov_b32 s10, s8
	s_lshl_b64 s[14:15], s[10:11], 3
	s_add_u32 s14, s36, s14
	s_addc_u32 s15, s37, s15
	global_load_dwordx2 v[0:1], v4, s[14:15]
	s_mov_b64 s[16:17], s[12:13]
	s_mov_b64 s[14:15], s[8:9]
	s_branch .LBB46_165
.LBB46_164:                             ;   in Loop: Header=BB46_165 Depth=2
	s_add_u32 s18, s14, 0xffffff7c
	s_addc_u32 s19, s15, -1
	global_store_dwordx2 v4, v[2:3], s[16:17] offset:1056
	s_add_u32 s16, s16, 0xfffffbe0
	s_addc_u32 s17, s17, -1
	s_cmpk_lt_i32 s14, 0x108
	s_mov_b64 s[20:21], 0
	s_cselect_b64 s[22:23], -1, 0
	s_mov_b64 s[14:15], s[18:19]
	s_andn2_b64 vcc, exec, s[22:23]
	s_cbranch_vccz .LBB46_167
.LBB46_165:                             ;   Parent Loop BB46_163 Depth=1
                                        ; =>  This Inner Loop Header: Depth=2
	global_load_dwordx2 v[2:3], v4, s[16:17]
	s_mov_b64 s[20:21], -1
	s_waitcnt vmcnt(0)
	v_cmp_nlt_f64_e32 vcc, v[2:3], v[0:1]
	s_cbranch_vccz .LBB46_164
; %bb.166:                              ;   in Loop: Header=BB46_163 Depth=1
                                        ; implicit-def: $sgpr16_sgpr17
                                        ; implicit-def: $sgpr18_sgpr19
.LBB46_167:                             ;   in Loop: Header=BB46_163 Depth=1
	s_andn2_b64 vcc, exec, s[20:21]
	s_cbranch_vccz .LBB46_162
; %bb.168:                              ;   in Loop: Header=BB46_163 Depth=1
	s_bfe_i64 s[14:15], s[18:19], 0x200000
	s_branch .LBB46_162
.LBB46_169:
	s_cmp_lt_i32 s48, 58
	s_cbranch_scc1 .LBB46_178
; %bb.170:
	s_mov_b64 s[8:9], 57
	s_mov_b32 s11, 0
	v_mov_b32_e32 v4, 0
	s_mov_b64 s[12:13], s[36:37]
	s_branch .LBB46_172
.LBB46_171:                             ;   in Loop: Header=BB46_172 Depth=1
	s_lshl_b64 s[14:15], s[14:15], 3
	s_add_u32 s14, s36, s14
	s_addc_u32 s15, s37, s15
	s_add_u32 s8, s8, 1
	s_addc_u32 s9, s9, 0
	;; [unrolled: 2-line block ×3, first 2 shown]
	s_cmp_lg_u32 s8, s48
	global_store_dwordx2 v4, v[0:1], s[14:15]
	s_cbranch_scc0 .LBB46_178
.LBB46_172:                             ; =>This Loop Header: Depth=1
                                        ;     Child Loop BB46_174 Depth 2
	s_mov_b32 s10, s8
	s_lshl_b64 s[14:15], s[10:11], 3
	s_add_u32 s14, s36, s14
	s_addc_u32 s15, s37, s15
	global_load_dwordx2 v[0:1], v4, s[14:15]
	s_mov_b64 s[16:17], s[12:13]
	s_mov_b64 s[14:15], s[8:9]
	s_branch .LBB46_174
.LBB46_173:                             ;   in Loop: Header=BB46_174 Depth=2
	s_add_u32 s18, s14, 0xffffffc7
	s_addc_u32 s19, s15, -1
	global_store_dwordx2 v4, v[2:3], s[16:17] offset:456
	s_add_u32 s16, s16, 0xfffffe38
	s_addc_u32 s17, s17, -1
	s_cmpk_lt_i32 s14, 0x72
	s_mov_b64 s[20:21], 0
	s_cselect_b64 s[22:23], -1, 0
	s_mov_b64 s[14:15], s[18:19]
	s_andn2_b64 vcc, exec, s[22:23]
	s_cbranch_vccz .LBB46_176
.LBB46_174:                             ;   Parent Loop BB46_172 Depth=1
                                        ; =>  This Inner Loop Header: Depth=2
	global_load_dwordx2 v[2:3], v4, s[16:17]
	s_mov_b64 s[20:21], -1
	s_waitcnt vmcnt(0)
	v_cmp_nlt_f64_e32 vcc, v[2:3], v[0:1]
	s_cbranch_vccz .LBB46_173
; %bb.175:                              ;   in Loop: Header=BB46_172 Depth=1
                                        ; implicit-def: $sgpr16_sgpr17
                                        ; implicit-def: $sgpr18_sgpr19
.LBB46_176:                             ;   in Loop: Header=BB46_172 Depth=1
	s_andn2_b64 vcc, exec, s[20:21]
	s_cbranch_vccz .LBB46_171
; %bb.177:                              ;   in Loop: Header=BB46_172 Depth=1
	s_bfe_i64 s[14:15], s[18:19], 0x200000
	s_branch .LBB46_171
.LBB46_178:
	s_cmp_lt_i32 s48, 24
	s_cbranch_scc1 .LBB46_187
; %bb.179:
	s_mov_b64 s[8:9], 23
	s_mov_b32 s11, 0
	v_mov_b32_e32 v4, 0
	s_mov_b64 s[12:13], s[36:37]
	s_branch .LBB46_181
.LBB46_180:                             ;   in Loop: Header=BB46_181 Depth=1
	s_lshl_b64 s[14:15], s[14:15], 3
	s_add_u32 s14, s36, s14
	s_addc_u32 s15, s37, s15
	s_add_u32 s8, s8, 1
	s_addc_u32 s9, s9, 0
	;; [unrolled: 2-line block ×3, first 2 shown]
	s_cmp_lg_u32 s8, s48
	global_store_dwordx2 v4, v[0:1], s[14:15]
	s_cbranch_scc0 .LBB46_187
.LBB46_181:                             ; =>This Loop Header: Depth=1
                                        ;     Child Loop BB46_183 Depth 2
	s_mov_b32 s10, s8
	s_lshl_b64 s[14:15], s[10:11], 3
	s_add_u32 s14, s36, s14
	s_addc_u32 s15, s37, s15
	global_load_dwordx2 v[0:1], v4, s[14:15]
	s_mov_b64 s[16:17], s[12:13]
	s_mov_b64 s[14:15], s[8:9]
	s_branch .LBB46_183
.LBB46_182:                             ;   in Loop: Header=BB46_183 Depth=2
	s_add_u32 s18, s14, 0xffffffe9
	s_addc_u32 s19, s15, -1
	global_store_dwordx2 v4, v[2:3], s[16:17] offset:184
	s_add_u32 s16, s16, 0xffffff48
	s_addc_u32 s17, s17, -1
	s_cmp_lt_i32 s14, 46
	s_mov_b64 s[20:21], 0
	s_cselect_b64 s[22:23], -1, 0
	s_mov_b64 s[14:15], s[18:19]
	s_andn2_b64 vcc, exec, s[22:23]
	s_cbranch_vccz .LBB46_185
.LBB46_183:                             ;   Parent Loop BB46_181 Depth=1
                                        ; =>  This Inner Loop Header: Depth=2
	global_load_dwordx2 v[2:3], v4, s[16:17]
	s_mov_b64 s[20:21], -1
	s_waitcnt vmcnt(0)
	v_cmp_nlt_f64_e32 vcc, v[2:3], v[0:1]
	s_cbranch_vccz .LBB46_182
; %bb.184:                              ;   in Loop: Header=BB46_181 Depth=1
                                        ; implicit-def: $sgpr16_sgpr17
                                        ; implicit-def: $sgpr18_sgpr19
.LBB46_185:                             ;   in Loop: Header=BB46_181 Depth=1
	s_andn2_b64 vcc, exec, s[20:21]
	s_cbranch_vccz .LBB46_180
; %bb.186:                              ;   in Loop: Header=BB46_181 Depth=1
	s_bfe_i64 s[14:15], s[18:19], 0x200000
	s_branch .LBB46_180
.LBB46_187:
	s_cmp_lt_i32 s48, 11
	s_cbranch_scc1 .LBB46_196
; %bb.188:
	s_mov_b64 s[8:9], 10
	s_mov_b32 s11, 0
	v_mov_b32_e32 v4, 0
	s_mov_b64 s[12:13], s[36:37]
	s_branch .LBB46_190
.LBB46_189:                             ;   in Loop: Header=BB46_190 Depth=1
	s_lshl_b64 s[14:15], s[14:15], 3
	s_add_u32 s14, s36, s14
	s_addc_u32 s15, s37, s15
	s_add_u32 s8, s8, 1
	s_addc_u32 s9, s9, 0
	;; [unrolled: 2-line block ×3, first 2 shown]
	s_cmp_lg_u32 s8, s48
	global_store_dwordx2 v4, v[0:1], s[14:15]
	s_cbranch_scc0 .LBB46_196
.LBB46_190:                             ; =>This Loop Header: Depth=1
                                        ;     Child Loop BB46_192 Depth 2
	s_mov_b32 s10, s8
	s_lshl_b64 s[14:15], s[10:11], 3
	s_add_u32 s14, s36, s14
	s_addc_u32 s15, s37, s15
	global_load_dwordx2 v[0:1], v4, s[14:15]
	s_mov_b64 s[16:17], s[12:13]
	s_mov_b64 s[14:15], s[8:9]
	s_branch .LBB46_192
.LBB46_191:                             ;   in Loop: Header=BB46_192 Depth=2
	s_add_u32 s18, s14, -10
	s_addc_u32 s19, s15, -1
	global_store_dwordx2 v4, v[2:3], s[16:17] offset:80
	s_add_u32 s16, s16, 0xffffffb0
	s_addc_u32 s17, s17, -1
	s_cmp_lt_i32 s14, 20
	s_mov_b64 s[20:21], 0
	s_cselect_b64 s[22:23], -1, 0
	s_mov_b64 s[14:15], s[18:19]
	s_andn2_b64 vcc, exec, s[22:23]
	s_cbranch_vccz .LBB46_194
.LBB46_192:                             ;   Parent Loop BB46_190 Depth=1
                                        ; =>  This Inner Loop Header: Depth=2
	global_load_dwordx2 v[2:3], v4, s[16:17]
	s_mov_b64 s[20:21], -1
	s_waitcnt vmcnt(0)
	v_cmp_nlt_f64_e32 vcc, v[2:3], v[0:1]
	s_cbranch_vccz .LBB46_191
; %bb.193:                              ;   in Loop: Header=BB46_190 Depth=1
                                        ; implicit-def: $sgpr16_sgpr17
                                        ; implicit-def: $sgpr18_sgpr19
.LBB46_194:                             ;   in Loop: Header=BB46_190 Depth=1
	s_andn2_b64 vcc, exec, s[20:21]
	s_cbranch_vccz .LBB46_189
; %bb.195:                              ;   in Loop: Header=BB46_190 Depth=1
	s_bfe_i64 s[14:15], s[18:19], 0x200000
	s_branch .LBB46_189
.LBB46_196:
	s_cmp_lt_i32 s48, 5
	s_cbranch_scc1 .LBB46_205
; %bb.197:
	s_add_u32 s8, s54, s52
	s_addc_u32 s9, s55, s53
	s_add_u32 s8, s8, 32
	s_addc_u32 s9, s9, 0
	s_mov_b64 s[10:11], 4
	s_mov_b32 s13, 0
	v_mov_b32_e32 v4, 0
	s_branch .LBB46_199
.LBB46_198:                             ;   in Loop: Header=BB46_199 Depth=1
	s_lshl_b64 s[14:15], s[14:15], 3
	s_add_u32 s14, s36, s14
	s_addc_u32 s15, s37, s15
	s_add_u32 s10, s10, 1
	s_addc_u32 s11, s11, 0
	;; [unrolled: 2-line block ×3, first 2 shown]
	s_cmp_lg_u32 s10, s48
	global_store_dwordx2 v4, v[0:1], s[14:15]
	s_cbranch_scc0 .LBB46_205
.LBB46_199:                             ; =>This Loop Header: Depth=1
                                        ;     Child Loop BB46_201 Depth 2
	s_mov_b32 s12, s10
	s_lshl_b64 s[14:15], s[12:13], 3
	s_add_u32 s14, s36, s14
	s_addc_u32 s15, s37, s15
	global_load_dwordx2 v[0:1], v4, s[14:15]
	s_mov_b64 s[16:17], s[8:9]
	s_mov_b64 s[14:15], s[10:11]
	s_branch .LBB46_201
.LBB46_200:                             ;   in Loop: Header=BB46_201 Depth=2
	s_add_u32 s20, s14, -4
	s_addc_u32 s21, s15, -1
	s_cmp_lt_i32 s14, 8
	global_store_dwordx2 v4, v[2:3], s[16:17]
	s_mov_b64 s[18:19], 0
	s_cselect_b64 s[24:25], -1, 0
	s_mov_b64 s[14:15], s[20:21]
	s_mov_b64 s[16:17], s[22:23]
	s_andn2_b64 vcc, exec, s[24:25]
	s_cbranch_vccz .LBB46_203
.LBB46_201:                             ;   Parent Loop BB46_199 Depth=1
                                        ; =>  This Inner Loop Header: Depth=2
	global_load_dwordx2 v[2:3], v4, s[16:17] offset:-32
	s_add_u32 s22, s16, 0xffffffe0
	s_addc_u32 s23, s17, -1
	s_mov_b64 s[18:19], -1
	s_waitcnt vmcnt(0)
	v_cmp_nlt_f64_e32 vcc, v[2:3], v[0:1]
	s_cbranch_vccz .LBB46_200
; %bb.202:                              ;   in Loop: Header=BB46_199 Depth=1
                                        ; implicit-def: $sgpr16_sgpr17
                                        ; implicit-def: $sgpr20_sgpr21
.LBB46_203:                             ;   in Loop: Header=BB46_199 Depth=1
	s_andn2_b64 vcc, exec, s[18:19]
	s_cbranch_vccz .LBB46_198
; %bb.204:                              ;   in Loop: Header=BB46_199 Depth=1
	s_bfe_i64 s[14:15], s[20:21], 0x200000
	s_branch .LBB46_198
.LBB46_205:
	s_cmp_lt_i32 s48, 2
	s_cbranch_scc1 .LBB46_212
; %bb.206:
	s_add_u32 s8, s54, s52
	s_addc_u32 s9, s55, s53
	s_add_u32 s8, s8, 8
	s_addc_u32 s9, s9, 0
	s_mov_b64 s[10:11], 1
	s_mov_b32 s13, 0
	v_mov_b32_e32 v4, 0
	s_branch .LBB46_208
.LBB46_207:                             ;   in Loop: Header=BB46_208 Depth=1
	s_lshl_b64 s[14:15], s[18:19], 3
	s_add_u32 s14, s36, s14
	s_addc_u32 s15, s37, s15
	s_add_u32 s10, s10, 1
	s_addc_u32 s11, s11, 0
	;; [unrolled: 2-line block ×3, first 2 shown]
	s_cmp_eq_u32 s10, s48
	global_store_dwordx2 v4, v[0:1], s[14:15]
	s_cbranch_scc1 .LBB46_212
.LBB46_208:                             ; =>This Loop Header: Depth=1
                                        ;     Child Loop BB46_210 Depth 2
	s_mov_b32 s12, s10
	s_lshl_b64 s[14:15], s[12:13], 3
	s_add_u32 s14, s36, s14
	s_addc_u32 s15, s37, s15
	global_load_dwordx2 v[0:1], v4, s[14:15]
	s_mov_b64 s[16:17], s[8:9]
	s_mov_b64 s[14:15], s[10:11]
	s_branch .LBB46_210
.LBB46_209:                             ;   in Loop: Header=BB46_210 Depth=2
	global_store_dwordx2 v4, v[2:3], s[16:17]
	s_add_u32 s16, s14, -1
	s_addc_u32 s17, s15, -1
	s_cmp_lt_i32 s14, 2
	s_mov_b64 s[18:19], 0
	s_cselect_b64 s[20:21], -1, 0
	s_mov_b64 s[14:15], s[16:17]
	s_mov_b64 s[16:17], s[22:23]
	s_andn2_b64 vcc, exec, s[20:21]
	s_cbranch_vccz .LBB46_207
.LBB46_210:                             ;   Parent Loop BB46_208 Depth=1
                                        ; =>  This Inner Loop Header: Depth=2
	global_load_dwordx2 v[2:3], v4, s[16:17] offset:-8
	s_add_u32 s22, s16, -8
	s_addc_u32 s23, s17, -1
	s_mov_b64 s[20:21], -1
	s_waitcnt vmcnt(0)
	v_cmp_nlt_f64_e32 vcc, v[2:3], v[0:1]
	s_cbranch_vccz .LBB46_209
; %bb.211:                              ;   in Loop: Header=BB46_210 Depth=2
                                        ; implicit-def: $sgpr16_sgpr17
	s_mov_b64 s[18:19], s[14:15]
	s_andn2_b64 vcc, exec, s[20:21]
	s_cbranch_vccnz .LBB46_210
	s_branch .LBB46_207
.LBB46_212:
	s_or_b64 exec, exec, s[4:5]
	s_cmp_lt_i32 s48, 2
	s_cselect_b64 s[10:11], -1, 0
	s_mov_b64 s[58:59], 0
	s_and_b64 vcc, exec, s[10:11]
	s_barrier
	s_cbranch_vccnz .LBB46_220
; %bb.213:
	s_add_i32 s20, s48, -1
	v_cmp_gt_u32_e32 vcc, s20, v41
	s_mov_b64 s[10:11], -1
	s_mov_b64 s[4:5], 0
	s_and_saveexec_b64 s[8:9], vcc
	s_cbranch_execz .LBB46_222
; %bb.214:
	s_add_u32 s21, s36, 8
	s_addc_u32 s22, s37, 0
	s_mov_b64 s[10:11], 0
	v_mov_b32_e32 v1, 0
	v_mov_b32_e32 v4, s37
	;; [unrolled: 1-line block ×3, first 2 shown]
                                        ; implicit-def: $sgpr12_sgpr13
	s_branch .LBB46_216
.LBB46_215:                             ;   in Loop: Header=BB46_216 Depth=1
	s_or_b64 exec, exec, s[18:19]
	s_xor_b64 s[14:15], s[14:15], -1
	s_and_b64 s[4:5], exec, s[4:5]
	s_or_b64 s[10:11], s[4:5], s[10:11]
	s_andn2_b64 s[4:5], s[12:13], exec
	s_and_b64 s[12:13], s[14:15], exec
	s_or_b64 s[12:13], s[4:5], s[12:13]
	s_andn2_b64 exec, exec, s[10:11]
	s_cbranch_execz .LBB46_221
.LBB46_216:                             ; =>This Inner Loop Header: Depth=1
	v_lshlrev_b64 v[2:3], 3, v[0:1]
	v_add_co_u32_e32 v2, vcc, s36, v2
	v_addc_co_u32_e32 v3, vcc, v4, v3, vcc
	global_load_dwordx2 v[2:3], v[2:3], off
                                        ; implicit-def: $sgpr14_sgpr15
	s_waitcnt vmcnt(0)
	v_cmp_u_f64_e64 s[16:17], v[2:3], v[2:3]
	v_cmp_o_f64_e32 vcc, v[2:3], v[2:3]
	s_and_saveexec_b64 s[18:19], vcc
	s_cbranch_execz .LBB46_218
; %bb.217:                              ;   in Loop: Header=BB46_216 Depth=1
	v_ashrrev_i32_e32 v7, 31, v0
	v_mov_b32_e32 v6, v0
	v_lshlrev_b64 v[6:7], 3, v[6:7]
	v_mov_b32_e32 v5, s22
	v_add_co_u32_e32 v6, vcc, s21, v6
	v_addc_co_u32_e32 v7, vcc, v5, v7, vcc
	global_load_dwordx2 v[6:7], v[6:7], off
	s_andn2_b64 s[16:17], s[16:17], exec
	s_mov_b64 s[14:15], -1
	s_waitcnt vmcnt(0)
	v_cmp_u_f64_e32 vcc, v[6:7], v[6:7]
	v_cmp_ge_f64_e64 s[4:5], v[2:3], v[6:7]
	s_or_b64 s[4:5], vcc, s[4:5]
	s_and_b64 s[4:5], s[4:5], exec
	s_or_b64 s[16:17], s[16:17], s[4:5]
.LBB46_218:                             ;   in Loop: Header=BB46_216 Depth=1
	s_or_b64 exec, exec, s[18:19]
	s_mov_b64 s[4:5], -1
	s_and_saveexec_b64 s[18:19], s[16:17]
	s_cbranch_execz .LBB46_215
; %bb.219:                              ;   in Loop: Header=BB46_216 Depth=1
	v_add_u32_e32 v0, s60, v0
	v_cmp_le_u32_e32 vcc, s20, v0
	s_andn2_b64 s[14:15], s[14:15], exec
	s_orn2_b64 s[4:5], vcc, exec
	s_branch .LBB46_215
.LBB46_220:
	s_mov_b64 s[4:5], 0
	s_branch .LBB46_223
.LBB46_221:
	s_or_b64 exec, exec, s[10:11]
	s_mov_b64 s[4:5], exec
	s_orn2_b64 s[10:11], s[12:13], exec
.LBB46_222:
	s_or_b64 exec, exec, s[8:9]
.LBB46_223:
	s_and_saveexec_b64 s[8:9], s[10:11]
	s_cbranch_execz .LBB46_225
; %bb.224:
	s_mov_b64 s[58:59], exec
	s_barrier
	s_andn2_b64 s[4:5], s[4:5], exec
.LBB46_225:
	s_or_b64 exec, exec, s[8:9]
	s_and_saveexec_b64 s[40:41], s[4:5]
	s_cbranch_execz .LBB46_227
; %bb.226:
	s_add_u32 s8, s6, 0x90
	s_addc_u32 s9, s7, 0
	s_getpc_b64 s[4:5]
	s_add_u32 s4, s4, __PRETTY_FUNCTION__._ZN9rocsolver6v33100L21shell_sort_descendingIdiEEvT0_PT_PS2_@rel32@lo+4
	s_addc_u32 s5, s5, __PRETTY_FUNCTION__._ZN9rocsolver6v33100L21shell_sort_descendingIdiEEvT0_PT_PS2_@rel32@hi+12
	v_mov_b32_e32 v0, s4
	v_mov_b32_e32 v1, s5
	s_getpc_b64 s[6:7]
	s_add_u32 s6, s6, __assert_fail@rel32@lo+4
	s_addc_u32 s7, s7, __assert_fail@rel32@hi+12
	s_swappc_b64 s[30:31], s[6:7]
	s_or_b64 s[62:63], s[62:63], exec
.LBB46_227:
	s_or_b64 exec, exec, s[40:41]
.LBB46_228:
	s_and_saveexec_b64 s[4:5], s[62:63]
; %bb.229:
	; divergent unreachable
; %bb.230:
	s_or_b64 exec, exec, s[4:5]
	s_and_saveexec_b64 s[4:5], s[58:59]
	s_cbranch_execz .LBB46_232
; %bb.231:
	s_barrier
.LBB46_232:
	s_or_b64 exec, exec, s[4:5]
	s_cbranch_execnz .LBB46_256
.LBB46_233:
	s_cmp_lt_i32 s48, 2
	s_cbranch_scc1 .LBB46_256
; %bb.234:
	s_cmp_lg_u32 s49, 0
	s_cselect_b64 s[12:13], -1, 0
	s_cmp_lg_u32 s50, 0
	s_cselect_b64 s[14:15], -1, 0
	;; [unrolled: 2-line block ×3, first 2 shown]
	s_add_i32 s33, s48, -2
	s_add_u32 s18, s54, s52
	v_cndmask_b32_e64 v0, 0, 1, s[12:13]
	s_addc_u32 s21, s55, s53
	v_cmp_ne_u32_e64 s[12:13], 1, v0
	v_cndmask_b32_e64 v0, 0, 1, s[14:15]
	s_add_u32 s20, s18, 8
	v_cmp_ne_u32_e64 s[14:15], 1, v0
	v_cndmask_b32_e64 v0, 0, 1, s[16:17]
	s_mov_b32 s19, 0
	v_cmp_eq_u32_e64 s[4:5], 0, v41
	v_cmp_gt_i32_e64 s[6:7], s49, v41
	v_cmp_gt_i32_e64 s[8:9], s50, v41
	;; [unrolled: 1-line block ×3, first 2 shown]
	s_addc_u32 s21, s21, 0
	v_mul_lo_u32 v2, s47, v41
	s_mul_i32 s40, s47, s42
	v_mul_lo_u32 v3, s61, v41
	s_mul_i32 s41, s61, s42
	v_mov_b32_e32 v4, 0
	v_cmp_ne_u32_e64 s[16:17], 1, v0
	s_mov_b32 s47, 0
	s_mov_b32 s52, 0
	s_branch .LBB46_237
.LBB46_235:                             ;   in Loop: Header=BB46_237 Depth=1
	s_or_b64 exec, exec, s[24:25]
	s_waitcnt lgkmcnt(0)
	s_barrier
.LBB46_236:                             ;   in Loop: Header=BB46_237 Depth=1
	s_add_u32 s20, s20, 8
	s_addc_u32 s21, s21, 0
	s_add_i32 s47, s47, s43
	s_cmp_eq_u32 s18, s33
	s_cbranch_scc1 .LBB46_256
.LBB46_237:                             ; =>This Loop Header: Depth=1
                                        ;     Child Loop BB46_238 Depth 2
                                        ;     Child Loop BB46_245 Depth 2
	;; [unrolled: 1-line block ×4, first 2 shown]
	s_mov_b32 s18, s52
	s_lshl_b64 s[22:23], s[18:19], 3
	s_add_u32 s24, s36, s22
	s_addc_u32 s25, s37, s23
	global_load_dwordx2 v[0:1], v4, s[24:25]
	s_add_i32 s52, s52, 1
	s_mov_b64 s[30:31], s[20:21]
	s_mov_b32 s23, s52
	s_mov_b32 s22, s18
.LBB46_238:                             ;   Parent Loop BB46_237 Depth=1
                                        ; =>  This Inner Loop Header: Depth=2
	global_load_dwordx2 v[6:7], v4, s[30:31]
	s_waitcnt vmcnt(0)
	v_cmp_gt_f64_e32 vcc, v[6:7], v[0:1]
	s_and_b64 s[54:55], vcc, exec
	s_cselect_b32 s22, s23, s22
	s_add_i32 s23, s23, 1
	s_add_u32 s30, s30, 8
	s_addc_u32 s31, s31, 0
	v_cndmask_b32_e32 v1, v1, v7, vcc
	s_cmp_lt_i32 s23, s48
	v_cndmask_b32_e32 v0, v0, v6, vcc
	s_cbranch_scc1 .LBB46_238
; %bb.239:                              ;   in Loop: Header=BB46_237 Depth=1
	s_cmp_eq_u32 s22, s18
	s_barrier
	s_cbranch_scc1 .LBB46_236
; %bb.240:                              ;   in Loop: Header=BB46_237 Depth=1
	s_and_saveexec_b64 s[30:31], s[4:5]
	s_cbranch_execz .LBB46_242
; %bb.241:                              ;   in Loop: Header=BB46_237 Depth=1
	global_load_dwordx2 v[6:7], v4, s[24:25]
	s_ashr_i32 s23, s22, 31
	s_lshl_b64 s[54:55], s[22:23], 3
	s_add_u32 s54, s36, s54
	s_addc_u32 s55, s37, s55
	s_waitcnt vmcnt(0)
	global_store_dwordx2 v4, v[6:7], s[54:55]
	global_store_dwordx2 v4, v[0:1], s[24:25]
.LBB46_242:                             ;   in Loop: Header=BB46_237 Depth=1
	s_or_b64 exec, exec, s[30:31]
	s_and_b64 vcc, exec, s[12:13]
	s_cbranch_vccnz .LBB46_247
; %bb.243:                              ;   in Loop: Header=BB46_237 Depth=1
	s_and_saveexec_b64 s[24:25], s[6:7]
	s_cbranch_execz .LBB46_246
; %bb.244:                              ;   in Loop: Header=BB46_237 Depth=1
	s_mov_b64 s[30:31], 0
	v_mov_b32_e32 v0, v2
	v_mov_b32_e32 v1, v41
.LBB46_245:                             ;   Parent Loop BB46_237 Depth=1
                                        ; =>  This Inner Loop Header: Depth=2
	v_add_u32_e32 v6, s22, v0
	v_ashrrev_i32_e32 v7, 31, v6
	v_add_u32_e32 v8, s18, v0
	v_lshlrev_b64 v[6:7], 4, v[6:7]
	v_mov_b32_e32 v5, s35
	v_ashrrev_i32_e32 v9, 31, v8
	v_add_co_u32_e32 v14, vcc, s34, v6
	v_lshlrev_b64 v[8:9], 4, v[8:9]
	v_addc_co_u32_e32 v15, vcc, v5, v7, vcc
	v_add_co_u32_e32 v16, vcc, s34, v8
	v_addc_co_u32_e32 v17, vcc, v5, v9, vcc
	flat_load_dwordx4 v[6:9], v[16:17]
	flat_load_dwordx4 v[10:13], v[14:15]
	v_add_u32_e32 v1, s42, v1
	v_cmp_le_i32_e32 vcc, s49, v1
	v_add_u32_e32 v0, s40, v0
	s_or_b64 s[30:31], vcc, s[30:31]
	s_waitcnt vmcnt(0) lgkmcnt(0)
	flat_store_dwordx4 v[14:15], v[6:9]
	flat_store_dwordx4 v[16:17], v[10:13]
	s_andn2_b64 exec, exec, s[30:31]
	s_cbranch_execnz .LBB46_245
.LBB46_246:                             ;   in Loop: Header=BB46_237 Depth=1
	s_or_b64 exec, exec, s[24:25]
	s_waitcnt lgkmcnt(0)
	s_barrier
.LBB46_247:                             ;   in Loop: Header=BB46_237 Depth=1
	s_and_b64 vcc, exec, s[14:15]
	s_cbranch_vccnz .LBB46_252
; %bb.248:                              ;   in Loop: Header=BB46_237 Depth=1
	s_and_saveexec_b64 s[24:25], s[8:9]
	s_cbranch_execz .LBB46_251
; %bb.249:                              ;   in Loop: Header=BB46_237 Depth=1
	s_mul_i32 s23, s22, s43
	s_mov_b64 s[30:31], 0
	v_mov_b32_e32 v0, v41
.LBB46_250:                             ;   Parent Loop BB46_237 Depth=1
                                        ; =>  This Inner Loop Header: Depth=2
	v_add_u32_e32 v6, s23, v0
	v_ashrrev_i32_e32 v7, 31, v6
	v_add_u32_e32 v8, s47, v0
	v_lshlrev_b64 v[6:7], 4, v[6:7]
	v_mov_b32_e32 v1, s29
	v_ashrrev_i32_e32 v9, 31, v8
	v_add_co_u32_e32 v14, vcc, s28, v6
	v_lshlrev_b64 v[8:9], 4, v[8:9]
	v_addc_co_u32_e32 v15, vcc, v1, v7, vcc
	v_add_co_u32_e32 v16, vcc, s28, v8
	v_addc_co_u32_e32 v17, vcc, v1, v9, vcc
	flat_load_dwordx4 v[6:9], v[16:17]
	flat_load_dwordx4 v[10:13], v[14:15]
	v_add_u32_e32 v0, s42, v0
	v_cmp_le_i32_e32 vcc, s50, v0
	s_or_b64 s[30:31], vcc, s[30:31]
	s_waitcnt vmcnt(0) lgkmcnt(0)
	flat_store_dwordx4 v[14:15], v[6:9]
	flat_store_dwordx4 v[16:17], v[10:13]
	s_andn2_b64 exec, exec, s[30:31]
	s_cbranch_execnz .LBB46_250
.LBB46_251:                             ;   in Loop: Header=BB46_237 Depth=1
	s_or_b64 exec, exec, s[24:25]
	s_waitcnt lgkmcnt(0)
	s_barrier
.LBB46_252:                             ;   in Loop: Header=BB46_237 Depth=1
	s_and_b64 vcc, exec, s[16:17]
	s_cbranch_vccnz .LBB46_236
; %bb.253:                              ;   in Loop: Header=BB46_237 Depth=1
	s_and_saveexec_b64 s[24:25], s[10:11]
	s_cbranch_execz .LBB46_235
; %bb.254:                              ;   in Loop: Header=BB46_237 Depth=1
	s_mov_b64 s[30:31], 0
	v_mov_b32_e32 v0, v3
	v_mov_b32_e32 v1, v41
.LBB46_255:                             ;   Parent Loop BB46_237 Depth=1
                                        ; =>  This Inner Loop Header: Depth=2
	v_add_u32_e32 v6, s22, v0
	v_ashrrev_i32_e32 v7, 31, v6
	v_add_u32_e32 v8, s18, v0
	v_lshlrev_b64 v[6:7], 4, v[6:7]
	v_mov_b32_e32 v5, s45
	v_ashrrev_i32_e32 v9, 31, v8
	v_add_co_u32_e32 v14, vcc, s44, v6
	v_lshlrev_b64 v[8:9], 4, v[8:9]
	v_addc_co_u32_e32 v15, vcc, v5, v7, vcc
	v_add_co_u32_e32 v16, vcc, s44, v8
	v_addc_co_u32_e32 v17, vcc, v5, v9, vcc
	flat_load_dwordx4 v[6:9], v[16:17]
	flat_load_dwordx4 v[10:13], v[14:15]
	v_add_u32_e32 v1, s42, v1
	v_cmp_le_i32_e32 vcc, s51, v1
	v_add_u32_e32 v0, s41, v0
	s_or_b64 s[30:31], vcc, s[30:31]
	s_waitcnt vmcnt(0) lgkmcnt(0)
	flat_store_dwordx4 v[14:15], v[6:9]
	flat_store_dwordx4 v[16:17], v[10:13]
	s_andn2_b64 exec, exec, s[30:31]
	s_cbranch_execnz .LBB46_255
	s_branch .LBB46_235
.LBB46_256:
	s_mov_b64 s[8:9], 0
.LBB46_257:
	s_andn2_b64 vcc, exec, s[8:9]
	s_cbranch_vccnz .LBB46_260
; %bb.258:
	v_cmp_eq_u32_e32 vcc, 0, v41
	s_and_saveexec_b64 s[4:5], vcc
	s_cbranch_execz .LBB46_260
; %bb.259:
	s_add_u32 s4, s38, s26
	s_addc_u32 s5, s39, s27
	v_mov_b32_e32 v0, 0
	v_mov_b32_e32 v1, s46
	global_store_dword v0, v1, s[4:5]
.LBB46_260:
	s_endpgm
	.section	.rodata,"a",@progbits
	.p2align	6, 0x0
	.amdhsa_kernel _ZN9rocsolver6v33100L14bdsqr_finalizeI19rocblas_complex_numIdEdPS3_S4_S4_EEviiiiPT0_lS6_lT1_iilT2_iilT3_iilPiSA_SA_
		.amdhsa_group_segment_fixed_size 32768
		.amdhsa_private_segment_fixed_size 144
		.amdhsa_kernarg_size 400
		.amdhsa_user_sgpr_count 10
		.amdhsa_user_sgpr_private_segment_buffer 1
		.amdhsa_user_sgpr_dispatch_ptr 1
		.amdhsa_user_sgpr_queue_ptr 0
		.amdhsa_user_sgpr_kernarg_segment_ptr 1
		.amdhsa_user_sgpr_dispatch_id 0
		.amdhsa_user_sgpr_flat_scratch_init 1
		.amdhsa_user_sgpr_kernarg_preload_length 0
		.amdhsa_user_sgpr_kernarg_preload_offset 0
		.amdhsa_user_sgpr_private_segment_size 0
		.amdhsa_uses_dynamic_stack 0
		.amdhsa_system_sgpr_private_segment_wavefront_offset 1
		.amdhsa_system_sgpr_workgroup_id_x 1
		.amdhsa_system_sgpr_workgroup_id_y 1
		.amdhsa_system_sgpr_workgroup_id_z 0
		.amdhsa_system_sgpr_workgroup_info 0
		.amdhsa_system_vgpr_workitem_id 2
		.amdhsa_next_free_vgpr 45
		.amdhsa_next_free_sgpr 78
		.amdhsa_accum_offset 48
		.amdhsa_reserve_vcc 1
		.amdhsa_reserve_flat_scratch 1
		.amdhsa_float_round_mode_32 0
		.amdhsa_float_round_mode_16_64 0
		.amdhsa_float_denorm_mode_32 3
		.amdhsa_float_denorm_mode_16_64 3
		.amdhsa_dx10_clamp 1
		.amdhsa_ieee_mode 1
		.amdhsa_fp16_overflow 0
		.amdhsa_tg_split 0
		.amdhsa_exception_fp_ieee_invalid_op 0
		.amdhsa_exception_fp_denorm_src 0
		.amdhsa_exception_fp_ieee_div_zero 0
		.amdhsa_exception_fp_ieee_overflow 0
		.amdhsa_exception_fp_ieee_underflow 0
		.amdhsa_exception_fp_ieee_inexact 0
		.amdhsa_exception_int_div_zero 0
	.end_amdhsa_kernel
	.section	.text._ZN9rocsolver6v33100L14bdsqr_finalizeI19rocblas_complex_numIdEdPS3_S4_S4_EEviiiiPT0_lS6_lT1_iilT2_iilT3_iilPiSA_SA_,"axG",@progbits,_ZN9rocsolver6v33100L14bdsqr_finalizeI19rocblas_complex_numIdEdPS3_S4_S4_EEviiiiPT0_lS6_lT1_iilT2_iilT3_iilPiSA_SA_,comdat
.Lfunc_end46:
	.size	_ZN9rocsolver6v33100L14bdsqr_finalizeI19rocblas_complex_numIdEdPS3_S4_S4_EEviiiiPT0_lS6_lT1_iilT2_iilT3_iilPiSA_SA_, .Lfunc_end46-_ZN9rocsolver6v33100L14bdsqr_finalizeI19rocblas_complex_numIdEdPS3_S4_S4_EEviiiiPT0_lS6_lT1_iilT2_iilT3_iilPiSA_SA_
                                        ; -- End function
	.section	.AMDGPU.csdata,"",@progbits
; Kernel info:
; codeLenInByte = 7924
; NumSgprs: 84
; NumVgprs: 45
; NumAgprs: 0
; TotalNumVgprs: 45
; ScratchSize: 144
; MemoryBound: 0
; FloatMode: 240
; IeeeMode: 1
; LDSByteSize: 32768 bytes/workgroup (compile time only)
; SGPRBlocks: 10
; VGPRBlocks: 5
; NumSGPRsForWavesPerEU: 84
; NumVGPRsForWavesPerEU: 45
; AccumOffset: 48
; Occupancy: 8
; WaveLimiterHint : 1
; COMPUTE_PGM_RSRC2:SCRATCH_EN: 1
; COMPUTE_PGM_RSRC2:USER_SGPR: 10
; COMPUTE_PGM_RSRC2:TRAP_HANDLER: 0
; COMPUTE_PGM_RSRC2:TGID_X_EN: 1
; COMPUTE_PGM_RSRC2:TGID_Y_EN: 1
; COMPUTE_PGM_RSRC2:TGID_Z_EN: 0
; COMPUTE_PGM_RSRC2:TIDIG_COMP_CNT: 2
; COMPUTE_PGM_RSRC3_GFX90A:ACCUM_OFFSET: 11
; COMPUTE_PGM_RSRC3_GFX90A:TG_SPLIT: 0
	.text
	.p2alignl 6, 3212836864
	.fill 256, 4, 3212836864
	.type	__const.__assert_fail.fmt,@object ; @__const.__assert_fail.fmt
	.section	.rodata.str1.16,"aMS",@progbits,1
	.p2align	4, 0x0
__const.__assert_fail.fmt:
	.asciz	"%s:%u: %s: Device-side assertion `%s' failed.\n"
	.size	__const.__assert_fail.fmt, 47

	.type	.str.3,@object                  ; @.str.3
	.section	.rodata.str1.1,"aMS",@progbits,1
.str.3:
	.asciz	"std::isnan(a[k]) || std::isnan(a[k + 1]) || a[k] >= a[k + 1]"
	.size	.str.3, 61

	.type	.str.4,@object                  ; @.str.4
.str.4:
	.asciz	"/root/src/amdgpu-assembly/repos/ROCm__rocSOLVER/library/src/include/lib_device_helpers.hpp"
	.size	.str.4, 91

	.type	__PRETTY_FUNCTION__._ZN9rocsolver6v33100L21shell_sort_descendingIfiEEvT0_PT_PS2_,@object ; @__PRETTY_FUNCTION__._ZN9rocsolver6v33100L21shell_sort_descendingIfiEEvT0_PT_PS2_
__PRETTY_FUNCTION__._ZN9rocsolver6v33100L21shell_sort_descendingIfiEEvT0_PT_PS2_:
	.asciz	"void rocsolver::shell_sort_descending(const I, S *, I *) [S = float, I = int]"
	.size	__PRETTY_FUNCTION__._ZN9rocsolver6v33100L21shell_sort_descendingIfiEEvT0_PT_PS2_, 78

	.type	__PRETTY_FUNCTION__._ZN9rocsolver6v33100L21shell_sort_descendingIdiEEvT0_PT_PS2_,@object ; @__PRETTY_FUNCTION__._ZN9rocsolver6v33100L21shell_sort_descendingIdiEEvT0_PT_PS2_
__PRETTY_FUNCTION__._ZN9rocsolver6v33100L21shell_sort_descendingIdiEEvT0_PT_PS2_:
	.asciz	"void rocsolver::shell_sort_descending(const I, S *, I *) [S = double, I = int]"
	.size	__PRETTY_FUNCTION__._ZN9rocsolver6v33100L21shell_sort_descendingIdiEEvT0_PT_PS2_, 79

	.type	__hip_cuid_868e845c1d259e12,@object ; @__hip_cuid_868e845c1d259e12
	.section	.bss,"aw",@nobits
	.globl	__hip_cuid_868e845c1d259e12
__hip_cuid_868e845c1d259e12:
	.byte	0                               ; 0x0
	.size	__hip_cuid_868e845c1d259e12, 1

	.ident	"AMD clang version 19.0.0git (https://github.com/RadeonOpenCompute/llvm-project roc-6.4.0 25133 c7fe45cf4b819c5991fe208aaa96edf142730f1d)"
	.section	".note.GNU-stack","",@progbits
	.addrsig
	.addrsig_sym __hip_cuid_868e845c1d259e12
	.amdgpu_metadata
---
amdhsa.kernels:
  - .agpr_count:     0
    .args:
      - .address_space:  global
        .offset:         0
        .size:           8
        .value_kind:     global_buffer
      - .offset:         8
        .size:           4
        .value_kind:     by_value
      - .offset:         12
        .size:           4
        .value_kind:     by_value
      - .offset:         16
        .size:           4
        .value_kind:     by_value
      - .offset:         24
        .size:           4
        .value_kind:     hidden_block_count_x
      - .offset:         28
        .size:           4
        .value_kind:     hidden_block_count_y
      - .offset:         32
        .size:           4
        .value_kind:     hidden_block_count_z
      - .offset:         36
        .size:           2
        .value_kind:     hidden_group_size_x
      - .offset:         38
        .size:           2
        .value_kind:     hidden_group_size_y
      - .offset:         40
        .size:           2
        .value_kind:     hidden_group_size_z
      - .offset:         42
        .size:           2
        .value_kind:     hidden_remainder_x
      - .offset:         44
        .size:           2
        .value_kind:     hidden_remainder_y
      - .offset:         46
        .size:           2
        .value_kind:     hidden_remainder_z
      - .offset:         64
        .size:           8
        .value_kind:     hidden_global_offset_x
      - .offset:         72
        .size:           8
        .value_kind:     hidden_global_offset_y
      - .offset:         80
        .size:           8
        .value_kind:     hidden_global_offset_z
      - .offset:         88
        .size:           2
        .value_kind:     hidden_grid_dims
    .group_segment_fixed_size: 0
    .kernarg_segment_align: 8
    .kernarg_segment_size: 280
    .language:       OpenCL C
    .language_version:
      - 2
      - 0
    .max_flat_workgroup_size: 1024
    .name:           _ZN9rocsolver6v33100L10reset_infoIiiiEEvPT_T0_T1_S4_
    .private_segment_fixed_size: 0
    .sgpr_count:     12
    .sgpr_spill_count: 0
    .symbol:         _ZN9rocsolver6v33100L10reset_infoIiiiEEvPT_T0_T1_S4_.kd
    .uniform_work_group_size: 1
    .uses_dynamic_stack: false
    .vgpr_count:     4
    .vgpr_spill_count: 0
    .wavefront_size: 64
  - .agpr_count:     0
    .args:
      - .offset:         0
        .size:           4
        .value_kind:     by_value
      - .address_space:  global
        .offset:         8
        .size:           8
        .value_kind:     global_buffer
      - .offset:         16
        .size:           8
        .value_kind:     by_value
      - .address_space:  global
        .offset:         24
        .size:           8
        .value_kind:     global_buffer
      - .offset:         32
        .size:           8
        .value_kind:     by_value
      - .address_space:  global
        .offset:         40
        .size:           8
        .value_kind:     global_buffer
      - .offset:         48
        .size:           4
        .value_kind:     by_value
      - .offset:         52
        .size:           4
        .value_kind:     by_value
      - .offset:         56
        .size:           4
        .value_kind:     by_value
      - .address_space:  global
        .offset:         64
        .size:           8
        .value_kind:     global_buffer
      - .address_space:  global
        .offset:         72
        .size:           8
        .value_kind:     global_buffer
      - .offset:         80
        .size:           8
        .value_kind:     by_value
      - .address_space:  global
        .offset:         88
        .size:           8
        .value_kind:     global_buffer
    .group_segment_fixed_size: 0
    .kernarg_segment_align: 8
    .kernarg_segment_size: 96
    .language:       OpenCL C
    .language_version:
      - 2
      - 0
    .max_flat_workgroup_size: 1024
    .name:           _ZN9rocsolver6v33100L10bdsqr_initIffEEviPT0_lS3_lPiiS2_S2_S4_S3_lS4_
    .private_segment_fixed_size: 0
    .sgpr_count:     40
    .sgpr_spill_count: 0
    .symbol:         _ZN9rocsolver6v33100L10bdsqr_initIffEEviPT0_lS3_lPiiS2_S2_S4_S3_lS4_.kd
    .uniform_work_group_size: 1
    .uses_dynamic_stack: false
    .vgpr_count:     12
    .vgpr_spill_count: 0
    .wavefront_size: 64
  - .agpr_count:     0
    .args:
      - .offset:         0
        .size:           4
        .value_kind:     by_value
      - .address_space:  global
        .offset:         8
        .size:           8
        .value_kind:     global_buffer
      - .offset:         16
        .size:           4
        .value_kind:     by_value
      - .address_space:  global
        .offset:         24
        .size:           8
        .value_kind:     global_buffer
      - .offset:         32
        .size:           4
        .value_kind:     by_value
      - .offset:         40
        .size:           4
        .value_kind:     hidden_block_count_x
      - .offset:         44
        .size:           4
        .value_kind:     hidden_block_count_y
      - .offset:         48
        .size:           4
        .value_kind:     hidden_block_count_z
      - .offset:         52
        .size:           2
        .value_kind:     hidden_group_size_x
      - .offset:         54
        .size:           2
        .value_kind:     hidden_group_size_y
      - .offset:         56
        .size:           2
        .value_kind:     hidden_group_size_z
      - .offset:         58
        .size:           2
        .value_kind:     hidden_remainder_x
      - .offset:         60
        .size:           2
        .value_kind:     hidden_remainder_y
      - .offset:         62
        .size:           2
        .value_kind:     hidden_remainder_z
      - .offset:         80
        .size:           8
        .value_kind:     hidden_global_offset_x
      - .offset:         88
        .size:           8
        .value_kind:     hidden_global_offset_y
      - .offset:         96
        .size:           8
        .value_kind:     hidden_global_offset_z
      - .offset:         104
        .size:           2
        .value_kind:     hidden_grid_dims
    .group_segment_fixed_size: 0
    .kernarg_segment_align: 8
    .kernarg_segment_size: 296
    .language:       OpenCL C
    .language_version:
      - 2
      - 0
    .max_flat_workgroup_size: 1024
    .name:           _ZN9rocsolver6v33100L11swap_kernelIfiEEvT0_PT_S2_S4_S2_
    .private_segment_fixed_size: 0
    .sgpr_count:     21
    .sgpr_spill_count: 0
    .symbol:         _ZN9rocsolver6v33100L11swap_kernelIfiEEvT0_PT_S2_S4_S2_.kd
    .uniform_work_group_size: 1
    .uses_dynamic_stack: false
    .vgpr_count:     12
    .vgpr_spill_count: 0
    .wavefront_size: 64
  - .agpr_count:     0
    .args:
      - .offset:         0
        .size:           4
        .value_kind:     by_value
      - .address_space:  global
        .offset:         8
        .size:           8
        .value_kind:     global_buffer
      - .offset:         16
        .size:           4
        .value_kind:     by_value
      - .address_space:  global
        .offset:         24
        .size:           8
        .value_kind:     global_buffer
      - .offset:         32
        .size:           4
        .value_kind:     by_value
      - .offset:         36
        .size:           4
        .value_kind:     by_value
      - .offset:         40
        .size:           4
        .value_kind:     by_value
      - .offset:         48
        .size:           4
        .value_kind:     hidden_block_count_x
      - .offset:         52
        .size:           4
        .value_kind:     hidden_block_count_y
      - .offset:         56
        .size:           4
        .value_kind:     hidden_block_count_z
      - .offset:         60
        .size:           2
        .value_kind:     hidden_group_size_x
      - .offset:         62
        .size:           2
        .value_kind:     hidden_group_size_y
      - .offset:         64
        .size:           2
        .value_kind:     hidden_group_size_z
      - .offset:         66
        .size:           2
        .value_kind:     hidden_remainder_x
      - .offset:         68
        .size:           2
        .value_kind:     hidden_remainder_y
      - .offset:         70
        .size:           2
        .value_kind:     hidden_remainder_z
      - .offset:         88
        .size:           8
        .value_kind:     hidden_global_offset_x
      - .offset:         96
        .size:           8
        .value_kind:     hidden_global_offset_y
      - .offset:         104
        .size:           8
        .value_kind:     hidden_global_offset_z
      - .offset:         112
        .size:           2
        .value_kind:     hidden_grid_dims
    .group_segment_fixed_size: 0
    .kernarg_segment_align: 8
    .kernarg_segment_size: 304
    .language:       OpenCL C
    .language_version:
      - 2
      - 0
    .max_flat_workgroup_size: 1024
    .name:           _ZN9rocsolver6v33100L10rot_kernelIffiEEvT1_PT0_S2_S4_S2_T_S5_
    .private_segment_fixed_size: 0
    .sgpr_count:     25
    .sgpr_spill_count: 0
    .symbol:         _ZN9rocsolver6v33100L10rot_kernelIffiEEvT1_PT0_S2_S4_S2_T_S5_.kd
    .uniform_work_group_size: 1
    .uses_dynamic_stack: false
    .vgpr_count:     14
    .vgpr_spill_count: 0
    .wavefront_size: 64
  - .agpr_count:     0
    .args:
      - .offset:         0
        .size:           4
        .value_kind:     by_value
      - .offset:         4
        .size:           4
        .value_kind:     by_value
      - .offset:         8
        .size:           4
        .value_kind:     by_value
      - .offset:         12
        .size:           4
        .value_kind:     by_value
      - .offset:         16
        .size:           4
        .value_kind:     by_value
      - .address_space:  global
        .offset:         24
        .size:           8
        .value_kind:     global_buffer
      - .offset:         32
        .size:           8
        .value_kind:     by_value
      - .address_space:  global
        .offset:         40
        .size:           8
        .value_kind:     global_buffer
      - .offset:         48
        .size:           8
        .value_kind:     by_value
      - .address_space:  global
        .offset:         56
        .size:           8
        .value_kind:     global_buffer
      - .offset:         64
        .size:           8
        .value_kind:     by_value
      - .offset:         72
        .size:           4
        .value_kind:     by_value
      - .offset:         80
        .size:           8
        .value_kind:     by_value
      - .offset:         88
        .size:           4
        .value_kind:     by_value
      - .offset:         96
        .size:           4
        .value_kind:     hidden_block_count_x
      - .offset:         100
        .size:           4
        .value_kind:     hidden_block_count_y
      - .offset:         104
        .size:           4
        .value_kind:     hidden_block_count_z
      - .offset:         108
        .size:           2
        .value_kind:     hidden_group_size_x
      - .offset:         110
        .size:           2
        .value_kind:     hidden_group_size_y
      - .offset:         112
        .size:           2
        .value_kind:     hidden_group_size_z
      - .offset:         114
        .size:           2
        .value_kind:     hidden_remainder_x
      - .offset:         116
        .size:           2
        .value_kind:     hidden_remainder_y
      - .offset:         118
        .size:           2
        .value_kind:     hidden_remainder_z
      - .offset:         136
        .size:           8
        .value_kind:     hidden_global_offset_x
      - .offset:         144
        .size:           8
        .value_kind:     hidden_global_offset_y
      - .offset:         152
        .size:           8
        .value_kind:     hidden_global_offset_z
      - .offset:         160
        .size:           2
        .value_kind:     hidden_grid_dims
    .group_segment_fixed_size: 0
    .kernarg_segment_align: 8
    .kernarg_segment_size: 352
    .language:       OpenCL C
    .language_version:
      - 2
      - 0
    .max_flat_workgroup_size: 64
    .name:           _ZN9rocsolver6v33100L11lasr_kernelIffPfiEEv13rocblas_side_14rocblas_pivot_15rocblas_direct_T2_S6_PT0_lS8_lT1_lS6_lS6_
    .private_segment_fixed_size: 0
    .sgpr_count:     100
    .sgpr_spill_count: 10
    .symbol:         _ZN9rocsolver6v33100L11lasr_kernelIffPfiEEv13rocblas_side_14rocblas_pivot_15rocblas_direct_T2_S6_PT0_lS8_lT1_lS6_lS6_.kd
    .uniform_work_group_size: 1
    .uses_dynamic_stack: false
    .vgpr_count:     43
    .vgpr_spill_count: 0
    .wavefront_size: 64
  - .agpr_count:     0
    .args:
      - .offset:         0
        .size:           4
        .value_kind:     by_value
      - .offset:         4
        .size:           4
        .value_kind:     by_value
      - .address_space:  global
        .offset:         8
        .size:           8
        .value_kind:     global_buffer
      - .offset:         16
        .size:           4
        .value_kind:     by_value
      - .offset:         24
        .size:           4
        .value_kind:     hidden_block_count_x
      - .offset:         28
        .size:           4
        .value_kind:     hidden_block_count_y
      - .offset:         32
        .size:           4
        .value_kind:     hidden_block_count_z
      - .offset:         36
        .size:           2
        .value_kind:     hidden_group_size_x
      - .offset:         38
        .size:           2
        .value_kind:     hidden_group_size_y
      - .offset:         40
        .size:           2
        .value_kind:     hidden_group_size_z
      - .offset:         42
        .size:           2
        .value_kind:     hidden_remainder_x
      - .offset:         44
        .size:           2
        .value_kind:     hidden_remainder_y
      - .offset:         46
        .size:           2
        .value_kind:     hidden_remainder_z
      - .offset:         64
        .size:           8
        .value_kind:     hidden_global_offset_x
      - .offset:         72
        .size:           8
        .value_kind:     hidden_global_offset_y
      - .offset:         80
        .size:           8
        .value_kind:     hidden_global_offset_z
      - .offset:         88
        .size:           2
        .value_kind:     hidden_grid_dims
    .group_segment_fixed_size: 0
    .kernarg_segment_align: 8
    .kernarg_segment_size: 280
    .language:       OpenCL C
    .language_version:
      - 2
      - 0
    .max_flat_workgroup_size: 1024
    .name:           _ZN9rocsolver6v33100L11scal_kernelIffiEEvT1_T_PT0_S2_
    .private_segment_fixed_size: 0
    .sgpr_count:     18
    .sgpr_spill_count: 0
    .symbol:         _ZN9rocsolver6v33100L11scal_kernelIffiEEvT1_T_PT0_S2_.kd
    .uniform_work_group_size: 1
    .uses_dynamic_stack: false
    .vgpr_count:     6
    .vgpr_spill_count: 0
    .wavefront_size: 64
  - .agpr_count:     0
    .args:
      - .offset:         0
        .size:           4
        .value_kind:     by_value
      - .offset:         4
        .size:           4
        .value_kind:     by_value
      - .offset:         8
        .size:           4
        .value_kind:     by_value
      - .address_space:  global
        .offset:         16
        .size:           8
        .value_kind:     global_buffer
      - .offset:         24
        .size:           8
        .value_kind:     by_value
      - .address_space:  global
        .offset:         32
        .size:           8
        .value_kind:     global_buffer
      - .offset:         40
        .size:           8
        .value_kind:     by_value
      - .address_space:  global
        .offset:         48
        .size:           8
        .value_kind:     global_buffer
      - .offset:         56
        .size:           4
        .value_kind:     by_value
      - .offset:         60
        .size:           4
        .value_kind:     by_value
      - .offset:         64
        .size:           8
        .value_kind:     by_value
      - .address_space:  global
        .offset:         72
        .size:           8
        .value_kind:     global_buffer
      - .offset:         80
        .size:           4
        .value_kind:     by_value
      - .offset:         84
        .size:           4
        .value_kind:     by_value
      - .offset:         88
        .size:           8
        .value_kind:     by_value
      - .address_space:  global
        .offset:         96
        .size:           8
        .value_kind:     global_buffer
      - .address_space:  global
        .offset:         104
        .size:           8
        .value_kind:     global_buffer
      - .offset:         112
        .size:           8
        .value_kind:     by_value
      - .address_space:  global
        .offset:         120
        .size:           8
        .value_kind:     global_buffer
      - .offset:         128
        .size:           4
        .value_kind:     hidden_block_count_x
      - .offset:         132
        .size:           4
        .value_kind:     hidden_block_count_y
      - .offset:         136
        .size:           4
        .value_kind:     hidden_block_count_z
      - .offset:         140
        .size:           2
        .value_kind:     hidden_group_size_x
      - .offset:         142
        .size:           2
        .value_kind:     hidden_group_size_y
      - .offset:         144
        .size:           2
        .value_kind:     hidden_group_size_z
      - .offset:         146
        .size:           2
        .value_kind:     hidden_remainder_x
      - .offset:         148
        .size:           2
        .value_kind:     hidden_remainder_y
      - .offset:         150
        .size:           2
        .value_kind:     hidden_remainder_z
      - .offset:         168
        .size:           8
        .value_kind:     hidden_global_offset_x
      - .offset:         176
        .size:           8
        .value_kind:     hidden_global_offset_y
      - .offset:         184
        .size:           8
        .value_kind:     hidden_global_offset_z
      - .offset:         192
        .size:           2
        .value_kind:     hidden_grid_dims
    .group_segment_fixed_size: 0
    .kernarg_segment_align: 8
    .kernarg_segment_size: 384
    .language:       OpenCL C
    .language_version:
      - 2
      - 0
    .max_flat_workgroup_size: 1024
    .name:           _ZN9rocsolver6v33100L17bdsqr_lower2upperIffPfS2_EEviiiPT0_lS4_lT1_iilT2_iilPiS4_lS7_
    .private_segment_fixed_size: 0
    .sgpr_count:     40
    .sgpr_spill_count: 0
    .symbol:         _ZN9rocsolver6v33100L17bdsqr_lower2upperIffPfS2_EEviiiPT0_lS4_lT1_iilT2_iilPiS4_lS7_.kd
    .uniform_work_group_size: 1
    .uses_dynamic_stack: false
    .vgpr_count:     16
    .vgpr_spill_count: 0
    .wavefront_size: 64
  - .agpr_count:     0
    .args:
      - .offset:         0
        .size:           4
        .value_kind:     by_value
      - .offset:         4
        .size:           4
        .value_kind:     by_value
      - .offset:         8
        .size:           4
        .value_kind:     by_value
      - .offset:         12
        .size:           4
        .value_kind:     by_value
      - .address_space:  global
        .offset:         16
        .size:           8
        .value_kind:     global_buffer
      - .offset:         24
        .size:           8
        .value_kind:     by_value
      - .address_space:  global
        .offset:         32
        .size:           8
        .value_kind:     global_buffer
      - .offset:         40
        .size:           8
        .value_kind:     by_value
      - .address_space:  global
        .offset:         48
        .size:           8
        .value_kind:     global_buffer
      - .offset:         56
        .size:           4
        .value_kind:     by_value
      - .offset:         60
        .size:           4
        .value_kind:     by_value
      - .offset:         64
        .size:           8
        .value_kind:     by_value
      - .address_space:  global
        .offset:         72
        .size:           8
        .value_kind:     global_buffer
      - .offset:         80
        .size:           4
        .value_kind:     by_value
      - .offset:         84
        .size:           4
        .value_kind:     by_value
      - .offset:         88
        .size:           8
        .value_kind:     by_value
      - .address_space:  global
        .offset:         96
        .size:           8
        .value_kind:     global_buffer
      - .offset:         104
        .size:           4
        .value_kind:     by_value
      - .offset:         108
        .size:           4
        .value_kind:     by_value
      - .offset:         112
        .size:           8
        .value_kind:     by_value
      - .offset:         120
        .size:           4
        .value_kind:     by_value
      - .offset:         124
        .size:           4
        .value_kind:     by_value
      - .offset:         128
        .size:           4
        .value_kind:     by_value
      - .offset:         132
        .size:           4
        .value_kind:     by_value
      - .offset:         136
        .size:           4
        .value_kind:     by_value
      - .address_space:  global
        .offset:         144
        .size:           8
        .value_kind:     global_buffer
      - .address_space:  global
        .offset:         152
        .size:           8
        .value_kind:     global_buffer
      - .offset:         160
        .size:           4
        .value_kind:     by_value
      - .offset:         168
        .size:           8
        .value_kind:     by_value
      - .address_space:  global
        .offset:         176
        .size:           8
        .value_kind:     global_buffer
      - .offset:         184
        .size:           4
        .value_kind:     hidden_block_count_x
      - .offset:         188
        .size:           4
        .value_kind:     hidden_block_count_y
      - .offset:         192
        .size:           4
        .value_kind:     hidden_block_count_z
      - .offset:         196
        .size:           2
        .value_kind:     hidden_group_size_x
      - .offset:         198
        .size:           2
        .value_kind:     hidden_group_size_y
      - .offset:         200
        .size:           2
        .value_kind:     hidden_group_size_z
      - .offset:         202
        .size:           2
        .value_kind:     hidden_remainder_x
      - .offset:         204
        .size:           2
        .value_kind:     hidden_remainder_y
      - .offset:         206
        .size:           2
        .value_kind:     hidden_remainder_z
      - .offset:         224
        .size:           8
        .value_kind:     hidden_global_offset_x
      - .offset:         232
        .size:           8
        .value_kind:     hidden_global_offset_y
      - .offset:         240
        .size:           8
        .value_kind:     hidden_global_offset_z
      - .offset:         248
        .size:           2
        .value_kind:     hidden_grid_dims
    .group_segment_fixed_size: 1040
    .kernarg_segment_align: 8
    .kernarg_segment_size: 440
    .language:       OpenCL C
    .language_version:
      - 2
      - 0
    .max_flat_workgroup_size: 1024
    .name:           _ZN9rocsolver6v33100L13bdsqr_computeILi256EffPfS2_S2_EEviiiiPT1_lS4_lT2_iilT3_iilT4_iiliS3_S3_S3_S3_PiS4_ilS8_
    .private_segment_fixed_size: 0
    .sgpr_count:     100
    .sgpr_spill_count: 27
    .symbol:         _ZN9rocsolver6v33100L13bdsqr_computeILi256EffPfS2_S2_EEviiiiPT1_lS4_lT2_iilT3_iilT4_iiliS3_S3_S3_S3_PiS4_ilS8_.kd
    .uniform_work_group_size: 1
    .uses_dynamic_stack: false
    .vgpr_count:     32
    .vgpr_spill_count: 0
    .wavefront_size: 64
  - .agpr_count:     0
    .args:
      - .offset:         0
        .size:           4
        .value_kind:     by_value
      - .offset:         4
        .size:           4
        .value_kind:     by_value
      - .offset:         8
        .size:           4
        .value_kind:     by_value
      - .offset:         12
        .size:           4
        .value_kind:     by_value
      - .address_space:  global
        .offset:         16
        .size:           8
        .value_kind:     global_buffer
      - .offset:         24
        .size:           4
        .value_kind:     by_value
      - .offset:         28
        .size:           4
        .value_kind:     by_value
      - .offset:         32
        .size:           8
        .value_kind:     by_value
      - .address_space:  global
        .offset:         40
        .size:           8
        .value_kind:     global_buffer
      - .offset:         48
        .size:           4
        .value_kind:     by_value
      - .offset:         52
        .size:           4
        .value_kind:     by_value
      - .offset:         56
        .size:           8
        .value_kind:     by_value
      - .address_space:  global
        .offset:         64
        .size:           8
        .value_kind:     global_buffer
      - .offset:         72
        .size:           4
        .value_kind:     by_value
      - .offset:         76
        .size:           4
        .value_kind:     by_value
      - .offset:         80
        .size:           8
        .value_kind:     by_value
      - .offset:         88
        .size:           4
        .value_kind:     by_value
      - .address_space:  global
        .offset:         96
        .size:           8
        .value_kind:     global_buffer
      - .address_space:  global
        .offset:         104
        .size:           8
        .value_kind:     global_buffer
      - .offset:         112
        .size:           4
        .value_kind:     by_value
      - .offset:         120
        .size:           8
        .value_kind:     by_value
      - .address_space:  global
        .offset:         128
        .size:           8
        .value_kind:     global_buffer
      - .offset:         136
        .size:           4
        .value_kind:     hidden_block_count_x
      - .offset:         140
        .size:           4
        .value_kind:     hidden_block_count_y
      - .offset:         144
        .size:           4
        .value_kind:     hidden_block_count_z
      - .offset:         148
        .size:           2
        .value_kind:     hidden_group_size_x
      - .offset:         150
        .size:           2
        .value_kind:     hidden_group_size_y
      - .offset:         152
        .size:           2
        .value_kind:     hidden_group_size_z
      - .offset:         154
        .size:           2
        .value_kind:     hidden_remainder_x
      - .offset:         156
        .size:           2
        .value_kind:     hidden_remainder_y
      - .offset:         158
        .size:           2
        .value_kind:     hidden_remainder_z
      - .offset:         176
        .size:           8
        .value_kind:     hidden_global_offset_x
      - .offset:         184
        .size:           8
        .value_kind:     hidden_global_offset_y
      - .offset:         192
        .size:           8
        .value_kind:     hidden_global_offset_z
      - .offset:         200
        .size:           2
        .value_kind:     hidden_grid_dims
    .group_segment_fixed_size: 0
    .kernarg_segment_align: 8
    .kernarg_segment_size: 392
    .language:       OpenCL C
    .language_version:
      - 2
      - 0
    .max_flat_workgroup_size: 1024
    .name:           _ZN9rocsolver6v33100L12bdsqr_rotateIffPfS2_S2_EEviiiiT1_iilT2_iilT3_iiliPiPT0_ilS6_
    .private_segment_fixed_size: 0
    .sgpr_count:     54
    .sgpr_spill_count: 0
    .symbol:         _ZN9rocsolver6v33100L12bdsqr_rotateIffPfS2_S2_EEviiiiT1_iilT2_iilT3_iiliPiPT0_ilS6_.kd
    .uniform_work_group_size: 1
    .uses_dynamic_stack: false
    .vgpr_count:     18
    .vgpr_spill_count: 0
    .wavefront_size: 64
  - .agpr_count:     0
    .args:
      - .offset:         0
        .size:           4
        .value_kind:     by_value
      - .address_space:  global
        .offset:         8
        .size:           8
        .value_kind:     global_buffer
      - .offset:         16
        .size:           8
        .value_kind:     by_value
      - .address_space:  global
        .offset:         24
        .size:           8
        .value_kind:     global_buffer
      - .address_space:  global
        .offset:         32
        .size:           8
        .value_kind:     global_buffer
      - .offset:         40
        .size:           8
        .value_kind:     by_value
      - .address_space:  global
        .offset:         48
        .size:           8
        .value_kind:     global_buffer
      - .offset:         56
        .size:           4
        .value_kind:     hidden_block_count_x
      - .offset:         60
        .size:           4
        .value_kind:     hidden_block_count_y
      - .offset:         64
        .size:           4
        .value_kind:     hidden_block_count_z
      - .offset:         68
        .size:           2
        .value_kind:     hidden_group_size_x
      - .offset:         70
        .size:           2
        .value_kind:     hidden_group_size_y
      - .offset:         72
        .size:           2
        .value_kind:     hidden_group_size_z
      - .offset:         74
        .size:           2
        .value_kind:     hidden_remainder_x
      - .offset:         76
        .size:           2
        .value_kind:     hidden_remainder_y
      - .offset:         78
        .size:           2
        .value_kind:     hidden_remainder_z
      - .offset:         96
        .size:           8
        .value_kind:     hidden_global_offset_x
      - .offset:         104
        .size:           8
        .value_kind:     hidden_global_offset_y
      - .offset:         112
        .size:           8
        .value_kind:     hidden_global_offset_z
      - .offset:         120
        .size:           2
        .value_kind:     hidden_grid_dims
    .group_segment_fixed_size: 0
    .kernarg_segment_align: 8
    .kernarg_segment_size: 312
    .language:       OpenCL C
    .language_version:
      - 2
      - 0
    .max_flat_workgroup_size: 1024
    .name:           _ZN9rocsolver6v33100L22bdsqr_update_endpointsIffEEviPT0_lPiS3_lS4_
    .private_segment_fixed_size: 0
    .sgpr_count:     30
    .sgpr_spill_count: 0
    .symbol:         _ZN9rocsolver6v33100L22bdsqr_update_endpointsIffEEviPT0_lPiS3_lS4_.kd
    .uniform_work_group_size: 1
    .uses_dynamic_stack: false
    .vgpr_count:     10
    .vgpr_spill_count: 0
    .wavefront_size: 64
  - .agpr_count:     0
    .args:
      - .offset:         0
        .size:           4
        .value_kind:     by_value
      - .offset:         4
        .size:           4
        .value_kind:     by_value
      - .address_space:  global
        .offset:         8
        .size:           8
        .value_kind:     global_buffer
      - .address_space:  global
        .offset:         16
        .size:           8
        .value_kind:     global_buffer
      - .offset:         24
        .size:           8
        .value_kind:     by_value
      - .address_space:  global
        .offset:         32
        .size:           8
        .value_kind:     global_buffer
    .group_segment_fixed_size: 0
    .kernarg_segment_align: 8
    .kernarg_segment_size: 40
    .language:       OpenCL C
    .language_version:
      - 2
      - 0
    .max_flat_workgroup_size: 1024
    .name:           _ZN9rocsolver6v33100L19bdsqr_chk_completedIffEEviiPiPT0_lS2_
    .private_segment_fixed_size: 0
    .sgpr_count:     20
    .sgpr_spill_count: 0
    .symbol:         _ZN9rocsolver6v33100L19bdsqr_chk_completedIffEEviiPiPT0_lS2_.kd
    .uniform_work_group_size: 1
    .uses_dynamic_stack: false
    .vgpr_count:     4
    .vgpr_spill_count: 0
    .wavefront_size: 64
  - .agpr_count:     0
    .args:
      - .offset:         0
        .size:           4
        .value_kind:     by_value
      - .offset:         4
        .size:           4
        .value_kind:     by_value
      - .offset:         8
        .size:           4
        .value_kind:     by_value
      - .offset:         12
        .size:           4
        .value_kind:     by_value
      - .address_space:  global
        .offset:         16
        .size:           8
        .value_kind:     global_buffer
      - .offset:         24
        .size:           8
        .value_kind:     by_value
      - .address_space:  global
        .offset:         32
        .size:           8
        .value_kind:     global_buffer
      - .offset:         40
        .size:           8
        .value_kind:     by_value
      - .address_space:  global
        .offset:         48
        .size:           8
        .value_kind:     global_buffer
      - .offset:         56
        .size:           4
        .value_kind:     by_value
      - .offset:         60
        .size:           4
        .value_kind:     by_value
      - .offset:         64
        .size:           8
        .value_kind:     by_value
      - .address_space:  global
        .offset:         72
        .size:           8
        .value_kind:     global_buffer
      - .offset:         80
        .size:           4
        .value_kind:     by_value
      - .offset:         84
        .size:           4
        .value_kind:     by_value
      - .offset:         88
        .size:           8
        .value_kind:     by_value
      - .address_space:  global
        .offset:         96
        .size:           8
        .value_kind:     global_buffer
      - .offset:         104
        .size:           4
        .value_kind:     by_value
      - .offset:         108
        .size:           4
        .value_kind:     by_value
      - .offset:         112
        .size:           8
        .value_kind:     by_value
      - .address_space:  global
        .offset:         120
        .size:           8
        .value_kind:     global_buffer
      - .address_space:  global
        .offset:         128
        .size:           8
        .value_kind:     global_buffer
      - .address_space:  global
        .offset:         136
        .size:           8
        .value_kind:     global_buffer
      - .offset:         144
        .size:           4
        .value_kind:     hidden_block_count_x
      - .offset:         148
        .size:           4
        .value_kind:     hidden_block_count_y
      - .offset:         152
        .size:           4
        .value_kind:     hidden_block_count_z
      - .offset:         156
        .size:           2
        .value_kind:     hidden_group_size_x
      - .offset:         158
        .size:           2
        .value_kind:     hidden_group_size_y
      - .offset:         160
        .size:           2
        .value_kind:     hidden_group_size_z
      - .offset:         162
        .size:           2
        .value_kind:     hidden_remainder_x
      - .offset:         164
        .size:           2
        .value_kind:     hidden_remainder_y
      - .offset:         166
        .size:           2
        .value_kind:     hidden_remainder_z
      - .offset:         184
        .size:           8
        .value_kind:     hidden_global_offset_x
      - .offset:         192
        .size:           8
        .value_kind:     hidden_global_offset_y
      - .offset:         200
        .size:           8
        .value_kind:     hidden_global_offset_z
      - .offset:         208
        .size:           2
        .value_kind:     hidden_grid_dims
      - .offset:         224
        .size:           8
        .value_kind:     hidden_hostcall_buffer
    .group_segment_fixed_size: 0
    .kernarg_segment_align: 8
    .kernarg_segment_size: 400
    .language:       OpenCL C
    .language_version:
      - 2
      - 0
    .max_flat_workgroup_size: 1024
    .name:           _ZN9rocsolver6v33100L14bdsqr_finalizeIffPfS2_S2_EEviiiiPT0_lS4_lT1_iilT2_iilT3_iilPiS8_S8_
    .private_segment_fixed_size: 64
    .sgpr_count:     84
    .sgpr_spill_count: 0
    .symbol:         _ZN9rocsolver6v33100L14bdsqr_finalizeIffPfS2_S2_EEviiiiPT0_lS4_lT1_iilT2_iilT3_iilPiS8_S8_.kd
    .uniform_work_group_size: 1
    .uses_dynamic_stack: false
    .vgpr_count:     45
    .vgpr_spill_count: 0
    .wavefront_size: 64
  - .agpr_count:     0
    .args:
      - .offset:         0
        .size:           4
        .value_kind:     by_value
      - .address_space:  global
        .offset:         8
        .size:           8
        .value_kind:     global_buffer
      - .offset:         16
        .size:           8
        .value_kind:     by_value
      - .address_space:  global
        .offset:         24
        .size:           8
        .value_kind:     global_buffer
      - .offset:         32
        .size:           8
        .value_kind:     by_value
      - .address_space:  global
        .offset:         40
        .size:           8
        .value_kind:     global_buffer
      - .offset:         48
        .size:           4
        .value_kind:     by_value
      - .offset:         56
        .size:           8
        .value_kind:     by_value
      - .offset:         64
        .size:           8
        .value_kind:     by_value
      - .address_space:  global
        .offset:         72
        .size:           8
        .value_kind:     global_buffer
      - .address_space:  global
        .offset:         80
        .size:           8
        .value_kind:     global_buffer
      - .offset:         88
        .size:           8
        .value_kind:     by_value
      - .address_space:  global
        .offset:         96
        .size:           8
        .value_kind:     global_buffer
    .group_segment_fixed_size: 0
    .kernarg_segment_align: 8
    .kernarg_segment_size: 104
    .language:       OpenCL C
    .language_version:
      - 2
      - 0
    .max_flat_workgroup_size: 1024
    .name:           _ZN9rocsolver6v33100L10bdsqr_initIddEEviPT0_lS3_lPiiS2_S2_S4_S3_lS4_
    .private_segment_fixed_size: 0
    .sgpr_count:     40
    .sgpr_spill_count: 0
    .symbol:         _ZN9rocsolver6v33100L10bdsqr_initIddEEviPT0_lS3_lPiiS2_S2_S4_S3_lS4_.kd
    .uniform_work_group_size: 1
    .uses_dynamic_stack: false
    .vgpr_count:     16
    .vgpr_spill_count: 0
    .wavefront_size: 64
  - .agpr_count:     0
    .args:
      - .offset:         0
        .size:           4
        .value_kind:     by_value
      - .address_space:  global
        .offset:         8
        .size:           8
        .value_kind:     global_buffer
      - .offset:         16
        .size:           4
        .value_kind:     by_value
      - .address_space:  global
        .offset:         24
        .size:           8
        .value_kind:     global_buffer
      - .offset:         32
        .size:           4
        .value_kind:     by_value
      - .offset:         40
        .size:           4
        .value_kind:     hidden_block_count_x
      - .offset:         44
        .size:           4
        .value_kind:     hidden_block_count_y
      - .offset:         48
        .size:           4
        .value_kind:     hidden_block_count_z
      - .offset:         52
        .size:           2
        .value_kind:     hidden_group_size_x
      - .offset:         54
        .size:           2
        .value_kind:     hidden_group_size_y
      - .offset:         56
        .size:           2
        .value_kind:     hidden_group_size_z
      - .offset:         58
        .size:           2
        .value_kind:     hidden_remainder_x
      - .offset:         60
        .size:           2
        .value_kind:     hidden_remainder_y
      - .offset:         62
        .size:           2
        .value_kind:     hidden_remainder_z
      - .offset:         80
        .size:           8
        .value_kind:     hidden_global_offset_x
      - .offset:         88
        .size:           8
        .value_kind:     hidden_global_offset_y
      - .offset:         96
        .size:           8
        .value_kind:     hidden_global_offset_z
      - .offset:         104
        .size:           2
        .value_kind:     hidden_grid_dims
    .group_segment_fixed_size: 0
    .kernarg_segment_align: 8
    .kernarg_segment_size: 296
    .language:       OpenCL C
    .language_version:
      - 2
      - 0
    .max_flat_workgroup_size: 1024
    .name:           _ZN9rocsolver6v33100L11swap_kernelIdiEEvT0_PT_S2_S4_S2_
    .private_segment_fixed_size: 0
    .sgpr_count:     21
    .sgpr_spill_count: 0
    .symbol:         _ZN9rocsolver6v33100L11swap_kernelIdiEEvT0_PT_S2_S4_S2_.kd
    .uniform_work_group_size: 1
    .uses_dynamic_stack: false
    .vgpr_count:     14
    .vgpr_spill_count: 0
    .wavefront_size: 64
  - .agpr_count:     0
    .args:
      - .offset:         0
        .size:           4
        .value_kind:     by_value
      - .address_space:  global
        .offset:         8
        .size:           8
        .value_kind:     global_buffer
      - .offset:         16
        .size:           4
        .value_kind:     by_value
      - .address_space:  global
        .offset:         24
        .size:           8
        .value_kind:     global_buffer
      - .offset:         32
        .size:           4
        .value_kind:     by_value
      - .offset:         40
        .size:           8
        .value_kind:     by_value
      - .offset:         48
        .size:           8
        .value_kind:     by_value
      - .offset:         56
        .size:           4
        .value_kind:     hidden_block_count_x
      - .offset:         60
        .size:           4
        .value_kind:     hidden_block_count_y
      - .offset:         64
        .size:           4
        .value_kind:     hidden_block_count_z
      - .offset:         68
        .size:           2
        .value_kind:     hidden_group_size_x
      - .offset:         70
        .size:           2
        .value_kind:     hidden_group_size_y
      - .offset:         72
        .size:           2
        .value_kind:     hidden_group_size_z
      - .offset:         74
        .size:           2
        .value_kind:     hidden_remainder_x
      - .offset:         76
        .size:           2
        .value_kind:     hidden_remainder_y
      - .offset:         78
        .size:           2
        .value_kind:     hidden_remainder_z
      - .offset:         96
        .size:           8
        .value_kind:     hidden_global_offset_x
      - .offset:         104
        .size:           8
        .value_kind:     hidden_global_offset_y
      - .offset:         112
        .size:           8
        .value_kind:     hidden_global_offset_z
      - .offset:         120
        .size:           2
        .value_kind:     hidden_grid_dims
    .group_segment_fixed_size: 0
    .kernarg_segment_align: 8
    .kernarg_segment_size: 312
    .language:       OpenCL C
    .language_version:
      - 2
      - 0
    .max_flat_workgroup_size: 1024
    .name:           _ZN9rocsolver6v33100L10rot_kernelIddiEEvT1_PT0_S2_S4_S2_T_S5_
    .private_segment_fixed_size: 0
    .sgpr_count:     25
    .sgpr_spill_count: 0
    .symbol:         _ZN9rocsolver6v33100L10rot_kernelIddiEEvT1_PT0_S2_S4_S2_T_S5_.kd
    .uniform_work_group_size: 1
    .uses_dynamic_stack: false
    .vgpr_count:     18
    .vgpr_spill_count: 0
    .wavefront_size: 64
  - .agpr_count:     0
    .args:
      - .offset:         0
        .size:           4
        .value_kind:     by_value
      - .offset:         4
        .size:           4
        .value_kind:     by_value
      - .offset:         8
        .size:           4
        .value_kind:     by_value
      - .offset:         12
        .size:           4
        .value_kind:     by_value
      - .offset:         16
        .size:           4
        .value_kind:     by_value
      - .address_space:  global
        .offset:         24
        .size:           8
        .value_kind:     global_buffer
      - .offset:         32
        .size:           8
        .value_kind:     by_value
      - .address_space:  global
        .offset:         40
        .size:           8
        .value_kind:     global_buffer
      - .offset:         48
        .size:           8
        .value_kind:     by_value
      - .address_space:  global
        .offset:         56
        .size:           8
        .value_kind:     global_buffer
      - .offset:         64
        .size:           8
        .value_kind:     by_value
      - .offset:         72
        .size:           4
        .value_kind:     by_value
      - .offset:         80
        .size:           8
        .value_kind:     by_value
      - .offset:         88
        .size:           4
        .value_kind:     by_value
      - .offset:         96
        .size:           4
        .value_kind:     hidden_block_count_x
      - .offset:         100
        .size:           4
        .value_kind:     hidden_block_count_y
      - .offset:         104
        .size:           4
        .value_kind:     hidden_block_count_z
      - .offset:         108
        .size:           2
        .value_kind:     hidden_group_size_x
      - .offset:         110
        .size:           2
        .value_kind:     hidden_group_size_y
      - .offset:         112
        .size:           2
        .value_kind:     hidden_group_size_z
      - .offset:         114
        .size:           2
        .value_kind:     hidden_remainder_x
      - .offset:         116
        .size:           2
        .value_kind:     hidden_remainder_y
      - .offset:         118
        .size:           2
        .value_kind:     hidden_remainder_z
      - .offset:         136
        .size:           8
        .value_kind:     hidden_global_offset_x
      - .offset:         144
        .size:           8
        .value_kind:     hidden_global_offset_y
      - .offset:         152
        .size:           8
        .value_kind:     hidden_global_offset_z
      - .offset:         160
        .size:           2
        .value_kind:     hidden_grid_dims
    .group_segment_fixed_size: 0
    .kernarg_segment_align: 8
    .kernarg_segment_size: 352
    .language:       OpenCL C
    .language_version:
      - 2
      - 0
    .max_flat_workgroup_size: 64
    .name:           _ZN9rocsolver6v33100L11lasr_kernelIddPdiEEv13rocblas_side_14rocblas_pivot_15rocblas_direct_T2_S6_PT0_lS8_lT1_lS6_lS6_
    .private_segment_fixed_size: 0
    .sgpr_count:     100
    .sgpr_spill_count: 10
    .symbol:         _ZN9rocsolver6v33100L11lasr_kernelIddPdiEEv13rocblas_side_14rocblas_pivot_15rocblas_direct_T2_S6_PT0_lS8_lT1_lS6_lS6_.kd
    .uniform_work_group_size: 1
    .uses_dynamic_stack: false
    .vgpr_count:     50
    .vgpr_spill_count: 0
    .wavefront_size: 64
  - .agpr_count:     0
    .args:
      - .offset:         0
        .size:           4
        .value_kind:     by_value
      - .offset:         8
        .size:           8
        .value_kind:     by_value
      - .address_space:  global
        .offset:         16
        .size:           8
        .value_kind:     global_buffer
      - .offset:         24
        .size:           4
        .value_kind:     by_value
      - .offset:         32
        .size:           4
        .value_kind:     hidden_block_count_x
      - .offset:         36
        .size:           4
        .value_kind:     hidden_block_count_y
      - .offset:         40
        .size:           4
        .value_kind:     hidden_block_count_z
      - .offset:         44
        .size:           2
        .value_kind:     hidden_group_size_x
      - .offset:         46
        .size:           2
        .value_kind:     hidden_group_size_y
      - .offset:         48
        .size:           2
        .value_kind:     hidden_group_size_z
      - .offset:         50
        .size:           2
        .value_kind:     hidden_remainder_x
      - .offset:         52
        .size:           2
        .value_kind:     hidden_remainder_y
      - .offset:         54
        .size:           2
        .value_kind:     hidden_remainder_z
      - .offset:         72
        .size:           8
        .value_kind:     hidden_global_offset_x
      - .offset:         80
        .size:           8
        .value_kind:     hidden_global_offset_y
      - .offset:         88
        .size:           8
        .value_kind:     hidden_global_offset_z
      - .offset:         96
        .size:           2
        .value_kind:     hidden_grid_dims
    .group_segment_fixed_size: 0
    .kernarg_segment_align: 8
    .kernarg_segment_size: 288
    .language:       OpenCL C
    .language_version:
      - 2
      - 0
    .max_flat_workgroup_size: 1024
    .name:           _ZN9rocsolver6v33100L11scal_kernelIddiEEvT1_T_PT0_S2_
    .private_segment_fixed_size: 0
    .sgpr_count:     19
    .sgpr_spill_count: 0
    .symbol:         _ZN9rocsolver6v33100L11scal_kernelIddiEEvT1_T_PT0_S2_.kd
    .uniform_work_group_size: 1
    .uses_dynamic_stack: false
    .vgpr_count:     8
    .vgpr_spill_count: 0
    .wavefront_size: 64
  - .agpr_count:     0
    .args:
      - .offset:         0
        .size:           4
        .value_kind:     by_value
      - .offset:         4
        .size:           4
        .value_kind:     by_value
      - .offset:         8
        .size:           4
        .value_kind:     by_value
      - .address_space:  global
        .offset:         16
        .size:           8
        .value_kind:     global_buffer
      - .offset:         24
        .size:           8
        .value_kind:     by_value
      - .address_space:  global
        .offset:         32
        .size:           8
        .value_kind:     global_buffer
      - .offset:         40
        .size:           8
        .value_kind:     by_value
      - .address_space:  global
        .offset:         48
        .size:           8
        .value_kind:     global_buffer
      - .offset:         56
        .size:           4
        .value_kind:     by_value
      - .offset:         60
        .size:           4
        .value_kind:     by_value
      - .offset:         64
        .size:           8
        .value_kind:     by_value
      - .address_space:  global
        .offset:         72
        .size:           8
        .value_kind:     global_buffer
      - .offset:         80
        .size:           4
        .value_kind:     by_value
      - .offset:         84
        .size:           4
        .value_kind:     by_value
      - .offset:         88
        .size:           8
        .value_kind:     by_value
      - .address_space:  global
        .offset:         96
        .size:           8
        .value_kind:     global_buffer
      - .address_space:  global
        .offset:         104
        .size:           8
        .value_kind:     global_buffer
      - .offset:         112
        .size:           8
        .value_kind:     by_value
      - .address_space:  global
        .offset:         120
        .size:           8
        .value_kind:     global_buffer
      - .offset:         128
        .size:           4
        .value_kind:     hidden_block_count_x
      - .offset:         132
        .size:           4
        .value_kind:     hidden_block_count_y
      - .offset:         136
        .size:           4
        .value_kind:     hidden_block_count_z
      - .offset:         140
        .size:           2
        .value_kind:     hidden_group_size_x
      - .offset:         142
        .size:           2
        .value_kind:     hidden_group_size_y
      - .offset:         144
        .size:           2
        .value_kind:     hidden_group_size_z
      - .offset:         146
        .size:           2
        .value_kind:     hidden_remainder_x
      - .offset:         148
        .size:           2
        .value_kind:     hidden_remainder_y
      - .offset:         150
        .size:           2
        .value_kind:     hidden_remainder_z
      - .offset:         168
        .size:           8
        .value_kind:     hidden_global_offset_x
      - .offset:         176
        .size:           8
        .value_kind:     hidden_global_offset_y
      - .offset:         184
        .size:           8
        .value_kind:     hidden_global_offset_z
      - .offset:         192
        .size:           2
        .value_kind:     hidden_grid_dims
    .group_segment_fixed_size: 0
    .kernarg_segment_align: 8
    .kernarg_segment_size: 384
    .language:       OpenCL C
    .language_version:
      - 2
      - 0
    .max_flat_workgroup_size: 1024
    .name:           _ZN9rocsolver6v33100L17bdsqr_lower2upperIddPdS2_EEviiiPT0_lS4_lT1_iilT2_iilPiS4_lS7_
    .private_segment_fixed_size: 0
    .sgpr_count:     42
    .sgpr_spill_count: 0
    .symbol:         _ZN9rocsolver6v33100L17bdsqr_lower2upperIddPdS2_EEviiiPT0_lS4_lT1_iilT2_iilPiS4_lS7_.kd
    .uniform_work_group_size: 1
    .uses_dynamic_stack: false
    .vgpr_count:     22
    .vgpr_spill_count: 0
    .wavefront_size: 64
  - .agpr_count:     0
    .args:
      - .offset:         0
        .size:           4
        .value_kind:     by_value
      - .offset:         4
        .size:           4
        .value_kind:     by_value
      - .offset:         8
        .size:           4
        .value_kind:     by_value
      - .offset:         12
        .size:           4
        .value_kind:     by_value
      - .address_space:  global
        .offset:         16
        .size:           8
        .value_kind:     global_buffer
      - .offset:         24
        .size:           8
        .value_kind:     by_value
      - .address_space:  global
        .offset:         32
        .size:           8
        .value_kind:     global_buffer
      - .offset:         40
        .size:           8
        .value_kind:     by_value
      - .address_space:  global
        .offset:         48
        .size:           8
        .value_kind:     global_buffer
      - .offset:         56
        .size:           4
        .value_kind:     by_value
      - .offset:         60
        .size:           4
        .value_kind:     by_value
      - .offset:         64
        .size:           8
        .value_kind:     by_value
      - .address_space:  global
        .offset:         72
        .size:           8
        .value_kind:     global_buffer
      - .offset:         80
        .size:           4
        .value_kind:     by_value
      - .offset:         84
        .size:           4
        .value_kind:     by_value
      - .offset:         88
        .size:           8
        .value_kind:     by_value
      - .address_space:  global
        .offset:         96
        .size:           8
        .value_kind:     global_buffer
      - .offset:         104
        .size:           4
        .value_kind:     by_value
      - .offset:         108
        .size:           4
        .value_kind:     by_value
      - .offset:         112
        .size:           8
        .value_kind:     by_value
      - .offset:         120
        .size:           4
        .value_kind:     by_value
      - .offset:         128
        .size:           8
        .value_kind:     by_value
      - .offset:         136
        .size:           8
        .value_kind:     by_value
      - .offset:         144
        .size:           8
        .value_kind:     by_value
      - .offset:         152
        .size:           8
        .value_kind:     by_value
      - .address_space:  global
        .offset:         160
        .size:           8
        .value_kind:     global_buffer
      - .address_space:  global
        .offset:         168
        .size:           8
        .value_kind:     global_buffer
      - .offset:         176
        .size:           4
        .value_kind:     by_value
      - .offset:         184
        .size:           8
        .value_kind:     by_value
      - .address_space:  global
        .offset:         192
        .size:           8
        .value_kind:     global_buffer
      - .offset:         200
        .size:           4
        .value_kind:     hidden_block_count_x
      - .offset:         204
        .size:           4
        .value_kind:     hidden_block_count_y
      - .offset:         208
        .size:           4
        .value_kind:     hidden_block_count_z
      - .offset:         212
        .size:           2
        .value_kind:     hidden_group_size_x
      - .offset:         214
        .size:           2
        .value_kind:     hidden_group_size_y
      - .offset:         216
        .size:           2
        .value_kind:     hidden_group_size_z
      - .offset:         218
        .size:           2
        .value_kind:     hidden_remainder_x
      - .offset:         220
        .size:           2
        .value_kind:     hidden_remainder_y
      - .offset:         222
        .size:           2
        .value_kind:     hidden_remainder_z
      - .offset:         240
        .size:           8
        .value_kind:     hidden_global_offset_x
      - .offset:         248
        .size:           8
        .value_kind:     hidden_global_offset_y
      - .offset:         256
        .size:           8
        .value_kind:     hidden_global_offset_z
      - .offset:         264
        .size:           2
        .value_kind:     hidden_grid_dims
    .group_segment_fixed_size: 2072
    .kernarg_segment_align: 8
    .kernarg_segment_size: 456
    .language:       OpenCL C
    .language_version:
      - 2
      - 0
    .max_flat_workgroup_size: 1024
    .name:           _ZN9rocsolver6v33100L13bdsqr_computeILi256EddPdS2_S2_EEviiiiPT1_lS4_lT2_iilT3_iilT4_iiliS3_S3_S3_S3_PiS4_ilS8_
    .private_segment_fixed_size: 0
    .sgpr_count:     100
    .sgpr_spill_count: 33
    .symbol:         _ZN9rocsolver6v33100L13bdsqr_computeILi256EddPdS2_S2_EEviiiiPT1_lS4_lT2_iilT3_iilT4_iiliS3_S3_S3_S3_PiS4_ilS8_.kd
    .uniform_work_group_size: 1
    .uses_dynamic_stack: false
    .vgpr_count:     37
    .vgpr_spill_count: 0
    .wavefront_size: 64
  - .agpr_count:     0
    .args:
      - .offset:         0
        .size:           4
        .value_kind:     by_value
      - .offset:         4
        .size:           4
        .value_kind:     by_value
      - .offset:         8
        .size:           4
        .value_kind:     by_value
      - .offset:         12
        .size:           4
        .value_kind:     by_value
      - .address_space:  global
        .offset:         16
        .size:           8
        .value_kind:     global_buffer
      - .offset:         24
        .size:           4
        .value_kind:     by_value
      - .offset:         28
        .size:           4
        .value_kind:     by_value
      - .offset:         32
        .size:           8
        .value_kind:     by_value
      - .address_space:  global
        .offset:         40
        .size:           8
        .value_kind:     global_buffer
      - .offset:         48
        .size:           4
        .value_kind:     by_value
      - .offset:         52
        .size:           4
        .value_kind:     by_value
      - .offset:         56
        .size:           8
        .value_kind:     by_value
      - .address_space:  global
        .offset:         64
        .size:           8
        .value_kind:     global_buffer
      - .offset:         72
        .size:           4
        .value_kind:     by_value
      - .offset:         76
        .size:           4
        .value_kind:     by_value
      - .offset:         80
        .size:           8
        .value_kind:     by_value
      - .offset:         88
        .size:           4
        .value_kind:     by_value
      - .address_space:  global
        .offset:         96
        .size:           8
        .value_kind:     global_buffer
      - .address_space:  global
        .offset:         104
        .size:           8
        .value_kind:     global_buffer
      - .offset:         112
        .size:           4
        .value_kind:     by_value
      - .offset:         120
        .size:           8
        .value_kind:     by_value
      - .address_space:  global
        .offset:         128
        .size:           8
        .value_kind:     global_buffer
      - .offset:         136
        .size:           4
        .value_kind:     hidden_block_count_x
      - .offset:         140
        .size:           4
        .value_kind:     hidden_block_count_y
      - .offset:         144
        .size:           4
        .value_kind:     hidden_block_count_z
      - .offset:         148
        .size:           2
        .value_kind:     hidden_group_size_x
      - .offset:         150
        .size:           2
        .value_kind:     hidden_group_size_y
      - .offset:         152
        .size:           2
        .value_kind:     hidden_group_size_z
      - .offset:         154
        .size:           2
        .value_kind:     hidden_remainder_x
      - .offset:         156
        .size:           2
        .value_kind:     hidden_remainder_y
      - .offset:         158
        .size:           2
        .value_kind:     hidden_remainder_z
      - .offset:         176
        .size:           8
        .value_kind:     hidden_global_offset_x
      - .offset:         184
        .size:           8
        .value_kind:     hidden_global_offset_y
      - .offset:         192
        .size:           8
        .value_kind:     hidden_global_offset_z
      - .offset:         200
        .size:           2
        .value_kind:     hidden_grid_dims
    .group_segment_fixed_size: 0
    .kernarg_segment_align: 8
    .kernarg_segment_size: 392
    .language:       OpenCL C
    .language_version:
      - 2
      - 0
    .max_flat_workgroup_size: 1024
    .name:           _ZN9rocsolver6v33100L12bdsqr_rotateIddPdS2_S2_EEviiiiT1_iilT2_iilT3_iiliPiPT0_ilS6_
    .private_segment_fixed_size: 0
    .sgpr_count:     54
    .sgpr_spill_count: 0
    .symbol:         _ZN9rocsolver6v33100L12bdsqr_rotateIddPdS2_S2_EEviiiiT1_iilT2_iilT3_iiliPiPT0_ilS6_.kd
    .uniform_work_group_size: 1
    .uses_dynamic_stack: false
    .vgpr_count:     24
    .vgpr_spill_count: 0
    .wavefront_size: 64
  - .agpr_count:     0
    .args:
      - .offset:         0
        .size:           4
        .value_kind:     by_value
      - .address_space:  global
        .offset:         8
        .size:           8
        .value_kind:     global_buffer
      - .offset:         16
        .size:           8
        .value_kind:     by_value
      - .address_space:  global
        .offset:         24
        .size:           8
        .value_kind:     global_buffer
      - .address_space:  global
        .offset:         32
        .size:           8
        .value_kind:     global_buffer
      - .offset:         40
        .size:           8
        .value_kind:     by_value
      - .address_space:  global
        .offset:         48
        .size:           8
        .value_kind:     global_buffer
      - .offset:         56
        .size:           4
        .value_kind:     hidden_block_count_x
      - .offset:         60
        .size:           4
        .value_kind:     hidden_block_count_y
      - .offset:         64
        .size:           4
        .value_kind:     hidden_block_count_z
      - .offset:         68
        .size:           2
        .value_kind:     hidden_group_size_x
      - .offset:         70
        .size:           2
        .value_kind:     hidden_group_size_y
      - .offset:         72
        .size:           2
        .value_kind:     hidden_group_size_z
      - .offset:         74
        .size:           2
        .value_kind:     hidden_remainder_x
      - .offset:         76
        .size:           2
        .value_kind:     hidden_remainder_y
      - .offset:         78
        .size:           2
        .value_kind:     hidden_remainder_z
      - .offset:         96
        .size:           8
        .value_kind:     hidden_global_offset_x
      - .offset:         104
        .size:           8
        .value_kind:     hidden_global_offset_y
      - .offset:         112
        .size:           8
        .value_kind:     hidden_global_offset_z
      - .offset:         120
        .size:           2
        .value_kind:     hidden_grid_dims
    .group_segment_fixed_size: 0
    .kernarg_segment_align: 8
    .kernarg_segment_size: 312
    .language:       OpenCL C
    .language_version:
      - 2
      - 0
    .max_flat_workgroup_size: 1024
    .name:           _ZN9rocsolver6v33100L22bdsqr_update_endpointsIddEEviPT0_lPiS3_lS4_
    .private_segment_fixed_size: 0
    .sgpr_count:     30
    .sgpr_spill_count: 0
    .symbol:         _ZN9rocsolver6v33100L22bdsqr_update_endpointsIddEEviPT0_lPiS3_lS4_.kd
    .uniform_work_group_size: 1
    .uses_dynamic_stack: false
    .vgpr_count:     16
    .vgpr_spill_count: 0
    .wavefront_size: 64
  - .agpr_count:     0
    .args:
      - .offset:         0
        .size:           4
        .value_kind:     by_value
      - .offset:         4
        .size:           4
        .value_kind:     by_value
      - .address_space:  global
        .offset:         8
        .size:           8
        .value_kind:     global_buffer
      - .address_space:  global
        .offset:         16
        .size:           8
        .value_kind:     global_buffer
      - .offset:         24
        .size:           8
        .value_kind:     by_value
      - .address_space:  global
        .offset:         32
        .size:           8
        .value_kind:     global_buffer
    .group_segment_fixed_size: 0
    .kernarg_segment_align: 8
    .kernarg_segment_size: 40
    .language:       OpenCL C
    .language_version:
      - 2
      - 0
    .max_flat_workgroup_size: 1024
    .name:           _ZN9rocsolver6v33100L19bdsqr_chk_completedIddEEviiPiPT0_lS2_
    .private_segment_fixed_size: 0
    .sgpr_count:     24
    .sgpr_spill_count: 0
    .symbol:         _ZN9rocsolver6v33100L19bdsqr_chk_completedIddEEviiPiPT0_lS2_.kd
    .uniform_work_group_size: 1
    .uses_dynamic_stack: false
    .vgpr_count:     6
    .vgpr_spill_count: 0
    .wavefront_size: 64
  - .agpr_count:     0
    .args:
      - .offset:         0
        .size:           4
        .value_kind:     by_value
      - .offset:         4
        .size:           4
        .value_kind:     by_value
      - .offset:         8
        .size:           4
        .value_kind:     by_value
      - .offset:         12
        .size:           4
        .value_kind:     by_value
      - .address_space:  global
        .offset:         16
        .size:           8
        .value_kind:     global_buffer
      - .offset:         24
        .size:           8
        .value_kind:     by_value
      - .address_space:  global
        .offset:         32
        .size:           8
        .value_kind:     global_buffer
      - .offset:         40
        .size:           8
        .value_kind:     by_value
      - .address_space:  global
        .offset:         48
        .size:           8
        .value_kind:     global_buffer
      - .offset:         56
        .size:           4
        .value_kind:     by_value
      - .offset:         60
        .size:           4
        .value_kind:     by_value
      - .offset:         64
        .size:           8
        .value_kind:     by_value
      - .address_space:  global
        .offset:         72
        .size:           8
        .value_kind:     global_buffer
      - .offset:         80
        .size:           4
        .value_kind:     by_value
      - .offset:         84
        .size:           4
        .value_kind:     by_value
      - .offset:         88
        .size:           8
        .value_kind:     by_value
      - .address_space:  global
        .offset:         96
        .size:           8
        .value_kind:     global_buffer
      - .offset:         104
        .size:           4
        .value_kind:     by_value
      - .offset:         108
        .size:           4
        .value_kind:     by_value
      - .offset:         112
        .size:           8
        .value_kind:     by_value
      - .address_space:  global
        .offset:         120
        .size:           8
        .value_kind:     global_buffer
      - .address_space:  global
        .offset:         128
        .size:           8
        .value_kind:     global_buffer
      - .address_space:  global
        .offset:         136
        .size:           8
        .value_kind:     global_buffer
      - .offset:         144
        .size:           4
        .value_kind:     hidden_block_count_x
      - .offset:         148
        .size:           4
        .value_kind:     hidden_block_count_y
      - .offset:         152
        .size:           4
        .value_kind:     hidden_block_count_z
      - .offset:         156
        .size:           2
        .value_kind:     hidden_group_size_x
      - .offset:         158
        .size:           2
        .value_kind:     hidden_group_size_y
      - .offset:         160
        .size:           2
        .value_kind:     hidden_group_size_z
      - .offset:         162
        .size:           2
        .value_kind:     hidden_remainder_x
      - .offset:         164
        .size:           2
        .value_kind:     hidden_remainder_y
      - .offset:         166
        .size:           2
        .value_kind:     hidden_remainder_z
      - .offset:         184
        .size:           8
        .value_kind:     hidden_global_offset_x
      - .offset:         192
        .size:           8
        .value_kind:     hidden_global_offset_y
      - .offset:         200
        .size:           8
        .value_kind:     hidden_global_offset_z
      - .offset:         208
        .size:           2
        .value_kind:     hidden_grid_dims
      - .offset:         224
        .size:           8
        .value_kind:     hidden_hostcall_buffer
    .group_segment_fixed_size: 0
    .kernarg_segment_align: 8
    .kernarg_segment_size: 400
    .language:       OpenCL C
    .language_version:
      - 2
      - 0
    .max_flat_workgroup_size: 1024
    .name:           _ZN9rocsolver6v33100L14bdsqr_finalizeIddPdS2_S2_EEviiiiPT0_lS4_lT1_iilT2_iilT3_iilPiS8_S8_
    .private_segment_fixed_size: 64
    .sgpr_count:     84
    .sgpr_spill_count: 0
    .symbol:         _ZN9rocsolver6v33100L14bdsqr_finalizeIddPdS2_S2_EEviiiiPT0_lS4_lT1_iilT2_iilT3_iilPiS8_S8_.kd
    .uniform_work_group_size: 1
    .uses_dynamic_stack: false
    .vgpr_count:     45
    .vgpr_spill_count: 0
    .wavefront_size: 64
  - .agpr_count:     0
    .args:
      - .offset:         0
        .size:           4
        .value_kind:     by_value
      - .address_space:  global
        .offset:         8
        .size:           8
        .value_kind:     global_buffer
      - .offset:         16
        .size:           8
        .value_kind:     by_value
      - .address_space:  global
        .offset:         24
        .size:           8
        .value_kind:     global_buffer
      - .offset:         32
        .size:           8
        .value_kind:     by_value
      - .address_space:  global
        .offset:         40
        .size:           8
        .value_kind:     global_buffer
      - .offset:         48
        .size:           4
        .value_kind:     by_value
      - .offset:         52
        .size:           4
        .value_kind:     by_value
      - .offset:         56
        .size:           4
        .value_kind:     by_value
      - .address_space:  global
        .offset:         64
        .size:           8
        .value_kind:     global_buffer
      - .address_space:  global
        .offset:         72
        .size:           8
        .value_kind:     global_buffer
      - .offset:         80
        .size:           8
        .value_kind:     by_value
      - .address_space:  global
        .offset:         88
        .size:           8
        .value_kind:     global_buffer
    .group_segment_fixed_size: 0
    .kernarg_segment_align: 8
    .kernarg_segment_size: 96
    .language:       OpenCL C
    .language_version:
      - 2
      - 0
    .max_flat_workgroup_size: 1024
    .name:           _ZN9rocsolver6v33100L10bdsqr_initI19rocblas_complex_numIfEfEEviPT0_lS5_lPiiS4_S4_S6_S5_lS6_
    .private_segment_fixed_size: 0
    .sgpr_count:     40
    .sgpr_spill_count: 0
    .symbol:         _ZN9rocsolver6v33100L10bdsqr_initI19rocblas_complex_numIfEfEEviPT0_lS5_lPiiS4_S4_S6_S5_lS6_.kd
    .uniform_work_group_size: 1
    .uses_dynamic_stack: false
    .vgpr_count:     12
    .vgpr_spill_count: 0
    .wavefront_size: 64
  - .agpr_count:     0
    .args:
      - .offset:         0
        .size:           4
        .value_kind:     by_value
      - .address_space:  global
        .offset:         8
        .size:           8
        .value_kind:     global_buffer
      - .offset:         16
        .size:           4
        .value_kind:     by_value
      - .address_space:  global
        .offset:         24
        .size:           8
        .value_kind:     global_buffer
      - .offset:         32
        .size:           4
        .value_kind:     by_value
      - .offset:         40
        .size:           4
        .value_kind:     hidden_block_count_x
      - .offset:         44
        .size:           4
        .value_kind:     hidden_block_count_y
      - .offset:         48
        .size:           4
        .value_kind:     hidden_block_count_z
      - .offset:         52
        .size:           2
        .value_kind:     hidden_group_size_x
      - .offset:         54
        .size:           2
        .value_kind:     hidden_group_size_y
      - .offset:         56
        .size:           2
        .value_kind:     hidden_group_size_z
      - .offset:         58
        .size:           2
        .value_kind:     hidden_remainder_x
      - .offset:         60
        .size:           2
        .value_kind:     hidden_remainder_y
      - .offset:         62
        .size:           2
        .value_kind:     hidden_remainder_z
      - .offset:         80
        .size:           8
        .value_kind:     hidden_global_offset_x
      - .offset:         88
        .size:           8
        .value_kind:     hidden_global_offset_y
      - .offset:         96
        .size:           8
        .value_kind:     hidden_global_offset_z
      - .offset:         104
        .size:           2
        .value_kind:     hidden_grid_dims
    .group_segment_fixed_size: 0
    .kernarg_segment_align: 8
    .kernarg_segment_size: 296
    .language:       OpenCL C
    .language_version:
      - 2
      - 0
    .max_flat_workgroup_size: 1024
    .name:           _ZN9rocsolver6v33100L11swap_kernelI19rocblas_complex_numIfEiEEvT0_PT_S4_S6_S4_
    .private_segment_fixed_size: 0
    .sgpr_count:     21
    .sgpr_spill_count: 0
    .symbol:         _ZN9rocsolver6v33100L11swap_kernelI19rocblas_complex_numIfEiEEvT0_PT_S4_S6_S4_.kd
    .uniform_work_group_size: 1
    .uses_dynamic_stack: false
    .vgpr_count:     14
    .vgpr_spill_count: 0
    .wavefront_size: 64
  - .agpr_count:     0
    .args:
      - .offset:         0
        .size:           4
        .value_kind:     by_value
      - .address_space:  global
        .offset:         8
        .size:           8
        .value_kind:     global_buffer
      - .offset:         16
        .size:           4
        .value_kind:     by_value
      - .address_space:  global
        .offset:         24
        .size:           8
        .value_kind:     global_buffer
      - .offset:         32
        .size:           4
        .value_kind:     by_value
      - .offset:         36
        .size:           4
        .value_kind:     by_value
      - .offset:         40
        .size:           4
        .value_kind:     by_value
      - .offset:         48
        .size:           4
        .value_kind:     hidden_block_count_x
      - .offset:         52
        .size:           4
        .value_kind:     hidden_block_count_y
      - .offset:         56
        .size:           4
        .value_kind:     hidden_block_count_z
      - .offset:         60
        .size:           2
        .value_kind:     hidden_group_size_x
      - .offset:         62
        .size:           2
        .value_kind:     hidden_group_size_y
      - .offset:         64
        .size:           2
        .value_kind:     hidden_group_size_z
      - .offset:         66
        .size:           2
        .value_kind:     hidden_remainder_x
      - .offset:         68
        .size:           2
        .value_kind:     hidden_remainder_y
      - .offset:         70
        .size:           2
        .value_kind:     hidden_remainder_z
      - .offset:         88
        .size:           8
        .value_kind:     hidden_global_offset_x
      - .offset:         96
        .size:           8
        .value_kind:     hidden_global_offset_y
      - .offset:         104
        .size:           8
        .value_kind:     hidden_global_offset_z
      - .offset:         112
        .size:           2
        .value_kind:     hidden_grid_dims
    .group_segment_fixed_size: 0
    .kernarg_segment_align: 8
    .kernarg_segment_size: 304
    .language:       OpenCL C
    .language_version:
      - 2
      - 0
    .max_flat_workgroup_size: 1024
    .name:           _ZN9rocsolver6v33100L10rot_kernelIf19rocblas_complex_numIfEiEEvT1_PT0_S4_S6_S4_T_S7_
    .private_segment_fixed_size: 0
    .sgpr_count:     27
    .sgpr_spill_count: 0
    .symbol:         _ZN9rocsolver6v33100L10rot_kernelIf19rocblas_complex_numIfEiEEvT1_PT0_S4_S6_S4_T_S7_.kd
    .uniform_work_group_size: 1
    .uses_dynamic_stack: false
    .vgpr_count:     18
    .vgpr_spill_count: 0
    .wavefront_size: 64
  - .agpr_count:     0
    .args:
      - .offset:         0
        .size:           4
        .value_kind:     by_value
      - .offset:         4
        .size:           4
        .value_kind:     by_value
      - .offset:         8
        .size:           4
        .value_kind:     by_value
      - .offset:         12
        .size:           4
        .value_kind:     by_value
      - .offset:         16
        .size:           4
        .value_kind:     by_value
      - .address_space:  global
        .offset:         24
        .size:           8
        .value_kind:     global_buffer
      - .offset:         32
        .size:           8
        .value_kind:     by_value
      - .address_space:  global
        .offset:         40
        .size:           8
        .value_kind:     global_buffer
      - .offset:         48
        .size:           8
        .value_kind:     by_value
      - .address_space:  global
        .offset:         56
        .size:           8
        .value_kind:     global_buffer
      - .offset:         64
        .size:           8
        .value_kind:     by_value
      - .offset:         72
        .size:           4
        .value_kind:     by_value
      - .offset:         80
        .size:           8
        .value_kind:     by_value
      - .offset:         88
        .size:           4
        .value_kind:     by_value
      - .offset:         96
        .size:           4
        .value_kind:     hidden_block_count_x
      - .offset:         100
        .size:           4
        .value_kind:     hidden_block_count_y
      - .offset:         104
        .size:           4
        .value_kind:     hidden_block_count_z
      - .offset:         108
        .size:           2
        .value_kind:     hidden_group_size_x
      - .offset:         110
        .size:           2
        .value_kind:     hidden_group_size_y
      - .offset:         112
        .size:           2
        .value_kind:     hidden_group_size_z
      - .offset:         114
        .size:           2
        .value_kind:     hidden_remainder_x
      - .offset:         116
        .size:           2
        .value_kind:     hidden_remainder_y
      - .offset:         118
        .size:           2
        .value_kind:     hidden_remainder_z
      - .offset:         136
        .size:           8
        .value_kind:     hidden_global_offset_x
      - .offset:         144
        .size:           8
        .value_kind:     hidden_global_offset_y
      - .offset:         152
        .size:           8
        .value_kind:     hidden_global_offset_z
      - .offset:         160
        .size:           2
        .value_kind:     hidden_grid_dims
    .group_segment_fixed_size: 0
    .kernarg_segment_align: 8
    .kernarg_segment_size: 352
    .language:       OpenCL C
    .language_version:
      - 2
      - 0
    .max_flat_workgroup_size: 64
    .name:           _ZN9rocsolver6v33100L11lasr_kernelI19rocblas_complex_numIfEfPS3_iEEv13rocblas_side_14rocblas_pivot_15rocblas_direct_T2_S8_PT0_lSA_lT1_lS8_lS8_
    .private_segment_fixed_size: 0
    .sgpr_count:     100
    .sgpr_spill_count: 10
    .symbol:         _ZN9rocsolver6v33100L11lasr_kernelI19rocblas_complex_numIfEfPS3_iEEv13rocblas_side_14rocblas_pivot_15rocblas_direct_T2_S8_PT0_lSA_lT1_lS8_lS8_.kd
    .uniform_work_group_size: 1
    .uses_dynamic_stack: false
    .vgpr_count:     49
    .vgpr_spill_count: 0
    .wavefront_size: 64
  - .agpr_count:     0
    .args:
      - .offset:         0
        .size:           4
        .value_kind:     by_value
      - .offset:         4
        .size:           4
        .value_kind:     by_value
      - .address_space:  global
        .offset:         8
        .size:           8
        .value_kind:     global_buffer
      - .offset:         16
        .size:           4
        .value_kind:     by_value
      - .offset:         24
        .size:           4
        .value_kind:     hidden_block_count_x
      - .offset:         28
        .size:           4
        .value_kind:     hidden_block_count_y
      - .offset:         32
        .size:           4
        .value_kind:     hidden_block_count_z
      - .offset:         36
        .size:           2
        .value_kind:     hidden_group_size_x
      - .offset:         38
        .size:           2
        .value_kind:     hidden_group_size_y
      - .offset:         40
        .size:           2
        .value_kind:     hidden_group_size_z
      - .offset:         42
        .size:           2
        .value_kind:     hidden_remainder_x
      - .offset:         44
        .size:           2
        .value_kind:     hidden_remainder_y
      - .offset:         46
        .size:           2
        .value_kind:     hidden_remainder_z
      - .offset:         64
        .size:           8
        .value_kind:     hidden_global_offset_x
      - .offset:         72
        .size:           8
        .value_kind:     hidden_global_offset_y
      - .offset:         80
        .size:           8
        .value_kind:     hidden_global_offset_z
      - .offset:         88
        .size:           2
        .value_kind:     hidden_grid_dims
    .group_segment_fixed_size: 0
    .kernarg_segment_align: 8
    .kernarg_segment_size: 280
    .language:       OpenCL C
    .language_version:
      - 2
      - 0
    .max_flat_workgroup_size: 1024
    .name:           _ZN9rocsolver6v33100L11scal_kernelIf19rocblas_complex_numIfEiEEvT1_T_PT0_S4_
    .private_segment_fixed_size: 0
    .sgpr_count:     20
    .sgpr_spill_count: 0
    .symbol:         _ZN9rocsolver6v33100L11scal_kernelIf19rocblas_complex_numIfEiEEvT1_T_PT0_S4_.kd
    .uniform_work_group_size: 1
    .uses_dynamic_stack: false
    .vgpr_count:     8
    .vgpr_spill_count: 0
    .wavefront_size: 64
  - .agpr_count:     0
    .args:
      - .offset:         0
        .size:           4
        .value_kind:     by_value
      - .offset:         4
        .size:           4
        .value_kind:     by_value
      - .offset:         8
        .size:           4
        .value_kind:     by_value
      - .address_space:  global
        .offset:         16
        .size:           8
        .value_kind:     global_buffer
      - .offset:         24
        .size:           8
        .value_kind:     by_value
      - .address_space:  global
        .offset:         32
        .size:           8
        .value_kind:     global_buffer
      - .offset:         40
        .size:           8
        .value_kind:     by_value
      - .address_space:  global
        .offset:         48
        .size:           8
        .value_kind:     global_buffer
      - .offset:         56
        .size:           4
        .value_kind:     by_value
      - .offset:         60
        .size:           4
        .value_kind:     by_value
      - .offset:         64
        .size:           8
        .value_kind:     by_value
      - .address_space:  global
        .offset:         72
        .size:           8
        .value_kind:     global_buffer
      - .offset:         80
        .size:           4
        .value_kind:     by_value
      - .offset:         84
        .size:           4
        .value_kind:     by_value
      - .offset:         88
        .size:           8
        .value_kind:     by_value
      - .address_space:  global
        .offset:         96
        .size:           8
        .value_kind:     global_buffer
      - .address_space:  global
        .offset:         104
        .size:           8
        .value_kind:     global_buffer
      - .offset:         112
        .size:           8
        .value_kind:     by_value
      - .address_space:  global
        .offset:         120
        .size:           8
        .value_kind:     global_buffer
      - .offset:         128
        .size:           4
        .value_kind:     hidden_block_count_x
      - .offset:         132
        .size:           4
        .value_kind:     hidden_block_count_y
      - .offset:         136
        .size:           4
        .value_kind:     hidden_block_count_z
      - .offset:         140
        .size:           2
        .value_kind:     hidden_group_size_x
      - .offset:         142
        .size:           2
        .value_kind:     hidden_group_size_y
      - .offset:         144
        .size:           2
        .value_kind:     hidden_group_size_z
      - .offset:         146
        .size:           2
        .value_kind:     hidden_remainder_x
      - .offset:         148
        .size:           2
        .value_kind:     hidden_remainder_y
      - .offset:         150
        .size:           2
        .value_kind:     hidden_remainder_z
      - .offset:         168
        .size:           8
        .value_kind:     hidden_global_offset_x
      - .offset:         176
        .size:           8
        .value_kind:     hidden_global_offset_y
      - .offset:         184
        .size:           8
        .value_kind:     hidden_global_offset_z
      - .offset:         192
        .size:           2
        .value_kind:     hidden_grid_dims
    .group_segment_fixed_size: 0
    .kernarg_segment_align: 8
    .kernarg_segment_size: 384
    .language:       OpenCL C
    .language_version:
      - 2
      - 0
    .max_flat_workgroup_size: 1024
    .name:           _ZN9rocsolver6v33100L17bdsqr_lower2upperI19rocblas_complex_numIfEfPS3_S4_EEviiiPT0_lS6_lT1_iilT2_iilPiS6_lS9_
    .private_segment_fixed_size: 0
    .sgpr_count:     40
    .sgpr_spill_count: 0
    .symbol:         _ZN9rocsolver6v33100L17bdsqr_lower2upperI19rocblas_complex_numIfEfPS3_S4_EEviiiPT0_lS6_lT1_iilT2_iilPiS6_lS9_.kd
    .uniform_work_group_size: 1
    .uses_dynamic_stack: false
    .vgpr_count:     22
    .vgpr_spill_count: 0
    .wavefront_size: 64
  - .agpr_count:     0
    .args:
      - .offset:         0
        .size:           4
        .value_kind:     by_value
      - .offset:         4
        .size:           4
        .value_kind:     by_value
      - .offset:         8
        .size:           4
        .value_kind:     by_value
      - .offset:         12
        .size:           4
        .value_kind:     by_value
      - .address_space:  global
        .offset:         16
        .size:           8
        .value_kind:     global_buffer
      - .offset:         24
        .size:           8
        .value_kind:     by_value
      - .address_space:  global
        .offset:         32
        .size:           8
        .value_kind:     global_buffer
      - .offset:         40
        .size:           8
        .value_kind:     by_value
      - .address_space:  global
        .offset:         48
        .size:           8
        .value_kind:     global_buffer
      - .offset:         56
        .size:           4
        .value_kind:     by_value
      - .offset:         60
        .size:           4
        .value_kind:     by_value
      - .offset:         64
        .size:           8
        .value_kind:     by_value
      - .address_space:  global
        .offset:         72
        .size:           8
        .value_kind:     global_buffer
      - .offset:         80
        .size:           4
        .value_kind:     by_value
      - .offset:         84
        .size:           4
        .value_kind:     by_value
      - .offset:         88
        .size:           8
        .value_kind:     by_value
      - .address_space:  global
        .offset:         96
        .size:           8
        .value_kind:     global_buffer
      - .offset:         104
        .size:           4
        .value_kind:     by_value
      - .offset:         108
        .size:           4
        .value_kind:     by_value
      - .offset:         112
        .size:           8
        .value_kind:     by_value
      - .offset:         120
        .size:           4
        .value_kind:     by_value
      - .offset:         124
        .size:           4
        .value_kind:     by_value
      - .offset:         128
        .size:           4
        .value_kind:     by_value
      - .offset:         132
        .size:           4
        .value_kind:     by_value
      - .offset:         136
        .size:           4
        .value_kind:     by_value
      - .address_space:  global
        .offset:         144
        .size:           8
        .value_kind:     global_buffer
      - .address_space:  global
        .offset:         152
        .size:           8
        .value_kind:     global_buffer
      - .offset:         160
        .size:           4
        .value_kind:     by_value
      - .offset:         168
        .size:           8
        .value_kind:     by_value
      - .address_space:  global
        .offset:         176
        .size:           8
        .value_kind:     global_buffer
      - .offset:         184
        .size:           4
        .value_kind:     hidden_block_count_x
      - .offset:         188
        .size:           4
        .value_kind:     hidden_block_count_y
      - .offset:         192
        .size:           4
        .value_kind:     hidden_block_count_z
      - .offset:         196
        .size:           2
        .value_kind:     hidden_group_size_x
      - .offset:         198
        .size:           2
        .value_kind:     hidden_group_size_y
      - .offset:         200
        .size:           2
        .value_kind:     hidden_group_size_z
      - .offset:         202
        .size:           2
        .value_kind:     hidden_remainder_x
      - .offset:         204
        .size:           2
        .value_kind:     hidden_remainder_y
      - .offset:         206
        .size:           2
        .value_kind:     hidden_remainder_z
      - .offset:         224
        .size:           8
        .value_kind:     hidden_global_offset_x
      - .offset:         232
        .size:           8
        .value_kind:     hidden_global_offset_y
      - .offset:         240
        .size:           8
        .value_kind:     hidden_global_offset_z
      - .offset:         248
        .size:           2
        .value_kind:     hidden_grid_dims
    .group_segment_fixed_size: 1040
    .kernarg_segment_align: 8
    .kernarg_segment_size: 440
    .language:       OpenCL C
    .language_version:
      - 2
      - 0
    .max_flat_workgroup_size: 1024
    .name:           _ZN9rocsolver6v33100L13bdsqr_computeILi256E19rocblas_complex_numIfEfPS3_S4_S4_EEviiiiPT1_lS6_lT2_iilT3_iilT4_iiliS5_S5_S5_S5_PiS6_ilSA_
    .private_segment_fixed_size: 0
    .sgpr_count:     100
    .sgpr_spill_count: 27
    .symbol:         _ZN9rocsolver6v33100L13bdsqr_computeILi256E19rocblas_complex_numIfEfPS3_S4_S4_EEviiiiPT1_lS6_lT2_iilT3_iilT4_iiliS5_S5_S5_S5_PiS6_ilSA_.kd
    .uniform_work_group_size: 1
    .uses_dynamic_stack: false
    .vgpr_count:     39
    .vgpr_spill_count: 0
    .wavefront_size: 64
  - .agpr_count:     0
    .args:
      - .offset:         0
        .size:           4
        .value_kind:     by_value
      - .offset:         4
        .size:           4
        .value_kind:     by_value
      - .offset:         8
        .size:           4
        .value_kind:     by_value
      - .offset:         12
        .size:           4
        .value_kind:     by_value
      - .address_space:  global
        .offset:         16
        .size:           8
        .value_kind:     global_buffer
      - .offset:         24
        .size:           4
        .value_kind:     by_value
      - .offset:         28
        .size:           4
        .value_kind:     by_value
      - .offset:         32
        .size:           8
        .value_kind:     by_value
      - .address_space:  global
        .offset:         40
        .size:           8
        .value_kind:     global_buffer
      - .offset:         48
        .size:           4
        .value_kind:     by_value
      - .offset:         52
        .size:           4
        .value_kind:     by_value
      - .offset:         56
        .size:           8
        .value_kind:     by_value
      - .address_space:  global
        .offset:         64
        .size:           8
        .value_kind:     global_buffer
      - .offset:         72
        .size:           4
        .value_kind:     by_value
      - .offset:         76
        .size:           4
        .value_kind:     by_value
      - .offset:         80
        .size:           8
        .value_kind:     by_value
      - .offset:         88
        .size:           4
        .value_kind:     by_value
      - .address_space:  global
        .offset:         96
        .size:           8
        .value_kind:     global_buffer
      - .address_space:  global
        .offset:         104
        .size:           8
        .value_kind:     global_buffer
      - .offset:         112
        .size:           4
        .value_kind:     by_value
      - .offset:         120
        .size:           8
        .value_kind:     by_value
      - .address_space:  global
        .offset:         128
        .size:           8
        .value_kind:     global_buffer
      - .offset:         136
        .size:           4
        .value_kind:     hidden_block_count_x
      - .offset:         140
        .size:           4
        .value_kind:     hidden_block_count_y
      - .offset:         144
        .size:           4
        .value_kind:     hidden_block_count_z
      - .offset:         148
        .size:           2
        .value_kind:     hidden_group_size_x
      - .offset:         150
        .size:           2
        .value_kind:     hidden_group_size_y
      - .offset:         152
        .size:           2
        .value_kind:     hidden_group_size_z
      - .offset:         154
        .size:           2
        .value_kind:     hidden_remainder_x
      - .offset:         156
        .size:           2
        .value_kind:     hidden_remainder_y
      - .offset:         158
        .size:           2
        .value_kind:     hidden_remainder_z
      - .offset:         176
        .size:           8
        .value_kind:     hidden_global_offset_x
      - .offset:         184
        .size:           8
        .value_kind:     hidden_global_offset_y
      - .offset:         192
        .size:           8
        .value_kind:     hidden_global_offset_z
      - .offset:         200
        .size:           2
        .value_kind:     hidden_grid_dims
    .group_segment_fixed_size: 0
    .kernarg_segment_align: 8
    .kernarg_segment_size: 392
    .language:       OpenCL C
    .language_version:
      - 2
      - 0
    .max_flat_workgroup_size: 1024
    .name:           _ZN9rocsolver6v33100L12bdsqr_rotateI19rocblas_complex_numIfEfPS3_S4_S4_EEviiiiT1_iilT2_iilT3_iiliPiPT0_ilS8_
    .private_segment_fixed_size: 0
    .sgpr_count:     52
    .sgpr_spill_count: 0
    .symbol:         _ZN9rocsolver6v33100L12bdsqr_rotateI19rocblas_complex_numIfEfPS3_S4_S4_EEviiiiT1_iilT2_iilT3_iiliPiPT0_ilS8_.kd
    .uniform_work_group_size: 1
    .uses_dynamic_stack: false
    .vgpr_count:     22
    .vgpr_spill_count: 0
    .wavefront_size: 64
  - .agpr_count:     0
    .args:
      - .offset:         0
        .size:           4
        .value_kind:     by_value
      - .address_space:  global
        .offset:         8
        .size:           8
        .value_kind:     global_buffer
      - .offset:         16
        .size:           8
        .value_kind:     by_value
      - .address_space:  global
        .offset:         24
        .size:           8
        .value_kind:     global_buffer
      - .address_space:  global
        .offset:         32
        .size:           8
        .value_kind:     global_buffer
      - .offset:         40
        .size:           8
        .value_kind:     by_value
      - .address_space:  global
        .offset:         48
        .size:           8
        .value_kind:     global_buffer
      - .offset:         56
        .size:           4
        .value_kind:     hidden_block_count_x
      - .offset:         60
        .size:           4
        .value_kind:     hidden_block_count_y
      - .offset:         64
        .size:           4
        .value_kind:     hidden_block_count_z
      - .offset:         68
        .size:           2
        .value_kind:     hidden_group_size_x
      - .offset:         70
        .size:           2
        .value_kind:     hidden_group_size_y
      - .offset:         72
        .size:           2
        .value_kind:     hidden_group_size_z
      - .offset:         74
        .size:           2
        .value_kind:     hidden_remainder_x
      - .offset:         76
        .size:           2
        .value_kind:     hidden_remainder_y
      - .offset:         78
        .size:           2
        .value_kind:     hidden_remainder_z
      - .offset:         96
        .size:           8
        .value_kind:     hidden_global_offset_x
      - .offset:         104
        .size:           8
        .value_kind:     hidden_global_offset_y
      - .offset:         112
        .size:           8
        .value_kind:     hidden_global_offset_z
      - .offset:         120
        .size:           2
        .value_kind:     hidden_grid_dims
    .group_segment_fixed_size: 0
    .kernarg_segment_align: 8
    .kernarg_segment_size: 312
    .language:       OpenCL C
    .language_version:
      - 2
      - 0
    .max_flat_workgroup_size: 1024
    .name:           _ZN9rocsolver6v33100L22bdsqr_update_endpointsI19rocblas_complex_numIfEfEEviPT0_lPiS5_lS6_
    .private_segment_fixed_size: 0
    .sgpr_count:     30
    .sgpr_spill_count: 0
    .symbol:         _ZN9rocsolver6v33100L22bdsqr_update_endpointsI19rocblas_complex_numIfEfEEviPT0_lPiS5_lS6_.kd
    .uniform_work_group_size: 1
    .uses_dynamic_stack: false
    .vgpr_count:     10
    .vgpr_spill_count: 0
    .wavefront_size: 64
  - .agpr_count:     0
    .args:
      - .offset:         0
        .size:           4
        .value_kind:     by_value
      - .offset:         4
        .size:           4
        .value_kind:     by_value
      - .address_space:  global
        .offset:         8
        .size:           8
        .value_kind:     global_buffer
      - .address_space:  global
        .offset:         16
        .size:           8
        .value_kind:     global_buffer
      - .offset:         24
        .size:           8
        .value_kind:     by_value
      - .address_space:  global
        .offset:         32
        .size:           8
        .value_kind:     global_buffer
    .group_segment_fixed_size: 0
    .kernarg_segment_align: 8
    .kernarg_segment_size: 40
    .language:       OpenCL C
    .language_version:
      - 2
      - 0
    .max_flat_workgroup_size: 1024
    .name:           _ZN9rocsolver6v33100L19bdsqr_chk_completedI19rocblas_complex_numIfEfEEviiPiPT0_lS4_
    .private_segment_fixed_size: 0
    .sgpr_count:     20
    .sgpr_spill_count: 0
    .symbol:         _ZN9rocsolver6v33100L19bdsqr_chk_completedI19rocblas_complex_numIfEfEEviiPiPT0_lS4_.kd
    .uniform_work_group_size: 1
    .uses_dynamic_stack: false
    .vgpr_count:     4
    .vgpr_spill_count: 0
    .wavefront_size: 64
  - .agpr_count:     0
    .args:
      - .offset:         0
        .size:           4
        .value_kind:     by_value
      - .offset:         4
        .size:           4
        .value_kind:     by_value
      - .offset:         8
        .size:           4
        .value_kind:     by_value
      - .offset:         12
        .size:           4
        .value_kind:     by_value
      - .address_space:  global
        .offset:         16
        .size:           8
        .value_kind:     global_buffer
      - .offset:         24
        .size:           8
        .value_kind:     by_value
      - .address_space:  global
        .offset:         32
        .size:           8
        .value_kind:     global_buffer
      - .offset:         40
        .size:           8
        .value_kind:     by_value
      - .address_space:  global
        .offset:         48
        .size:           8
        .value_kind:     global_buffer
      - .offset:         56
        .size:           4
        .value_kind:     by_value
      - .offset:         60
        .size:           4
        .value_kind:     by_value
      - .offset:         64
        .size:           8
        .value_kind:     by_value
      - .address_space:  global
        .offset:         72
        .size:           8
        .value_kind:     global_buffer
      - .offset:         80
        .size:           4
        .value_kind:     by_value
      - .offset:         84
        .size:           4
        .value_kind:     by_value
      - .offset:         88
        .size:           8
        .value_kind:     by_value
      - .address_space:  global
        .offset:         96
        .size:           8
        .value_kind:     global_buffer
      - .offset:         104
        .size:           4
        .value_kind:     by_value
      - .offset:         108
        .size:           4
        .value_kind:     by_value
      - .offset:         112
        .size:           8
        .value_kind:     by_value
      - .address_space:  global
        .offset:         120
        .size:           8
        .value_kind:     global_buffer
      - .address_space:  global
        .offset:         128
        .size:           8
        .value_kind:     global_buffer
      - .address_space:  global
        .offset:         136
        .size:           8
        .value_kind:     global_buffer
      - .offset:         144
        .size:           4
        .value_kind:     hidden_block_count_x
      - .offset:         148
        .size:           4
        .value_kind:     hidden_block_count_y
      - .offset:         152
        .size:           4
        .value_kind:     hidden_block_count_z
      - .offset:         156
        .size:           2
        .value_kind:     hidden_group_size_x
      - .offset:         158
        .size:           2
        .value_kind:     hidden_group_size_y
      - .offset:         160
        .size:           2
        .value_kind:     hidden_group_size_z
      - .offset:         162
        .size:           2
        .value_kind:     hidden_remainder_x
      - .offset:         164
        .size:           2
        .value_kind:     hidden_remainder_y
      - .offset:         166
        .size:           2
        .value_kind:     hidden_remainder_z
      - .offset:         184
        .size:           8
        .value_kind:     hidden_global_offset_x
      - .offset:         192
        .size:           8
        .value_kind:     hidden_global_offset_y
      - .offset:         200
        .size:           8
        .value_kind:     hidden_global_offset_z
      - .offset:         208
        .size:           2
        .value_kind:     hidden_grid_dims
      - .offset:         224
        .size:           8
        .value_kind:     hidden_hostcall_buffer
    .group_segment_fixed_size: 0
    .kernarg_segment_align: 8
    .kernarg_segment_size: 400
    .language:       OpenCL C
    .language_version:
      - 2
      - 0
    .max_flat_workgroup_size: 1024
    .name:           _ZN9rocsolver6v33100L14bdsqr_finalizeI19rocblas_complex_numIfEfPS3_S4_S4_EEviiiiPT0_lS6_lT1_iilT2_iilT3_iilPiSA_SA_
    .private_segment_fixed_size: 64
    .sgpr_count:     84
    .sgpr_spill_count: 0
    .symbol:         _ZN9rocsolver6v33100L14bdsqr_finalizeI19rocblas_complex_numIfEfPS3_S4_S4_EEviiiiPT0_lS6_lT1_iilT2_iilT3_iilPiSA_SA_.kd
    .uniform_work_group_size: 1
    .uses_dynamic_stack: false
    .vgpr_count:     45
    .vgpr_spill_count: 0
    .wavefront_size: 64
  - .agpr_count:     0
    .args:
      - .offset:         0
        .size:           4
        .value_kind:     by_value
      - .address_space:  global
        .offset:         8
        .size:           8
        .value_kind:     global_buffer
      - .offset:         16
        .size:           8
        .value_kind:     by_value
      - .address_space:  global
        .offset:         24
        .size:           8
        .value_kind:     global_buffer
      - .offset:         32
        .size:           8
        .value_kind:     by_value
      - .address_space:  global
        .offset:         40
        .size:           8
        .value_kind:     global_buffer
      - .offset:         48
        .size:           4
        .value_kind:     by_value
      - .offset:         56
        .size:           8
        .value_kind:     by_value
      - .offset:         64
        .size:           8
        .value_kind:     by_value
      - .address_space:  global
        .offset:         72
        .size:           8
        .value_kind:     global_buffer
      - .address_space:  global
        .offset:         80
        .size:           8
        .value_kind:     global_buffer
      - .offset:         88
        .size:           8
        .value_kind:     by_value
      - .address_space:  global
        .offset:         96
        .size:           8
        .value_kind:     global_buffer
    .group_segment_fixed_size: 0
    .kernarg_segment_align: 8
    .kernarg_segment_size: 104
    .language:       OpenCL C
    .language_version:
      - 2
      - 0
    .max_flat_workgroup_size: 1024
    .name:           _ZN9rocsolver6v33100L10bdsqr_initI19rocblas_complex_numIdEdEEviPT0_lS5_lPiiS4_S4_S6_S5_lS6_
    .private_segment_fixed_size: 0
    .sgpr_count:     40
    .sgpr_spill_count: 0
    .symbol:         _ZN9rocsolver6v33100L10bdsqr_initI19rocblas_complex_numIdEdEEviPT0_lS5_lPiiS4_S4_S6_S5_lS6_.kd
    .uniform_work_group_size: 1
    .uses_dynamic_stack: false
    .vgpr_count:     16
    .vgpr_spill_count: 0
    .wavefront_size: 64
  - .agpr_count:     0
    .args:
      - .offset:         0
        .size:           4
        .value_kind:     by_value
      - .address_space:  global
        .offset:         8
        .size:           8
        .value_kind:     global_buffer
      - .offset:         16
        .size:           4
        .value_kind:     by_value
      - .address_space:  global
        .offset:         24
        .size:           8
        .value_kind:     global_buffer
      - .offset:         32
        .size:           4
        .value_kind:     by_value
      - .offset:         40
        .size:           4
        .value_kind:     hidden_block_count_x
      - .offset:         44
        .size:           4
        .value_kind:     hidden_block_count_y
      - .offset:         48
        .size:           4
        .value_kind:     hidden_block_count_z
      - .offset:         52
        .size:           2
        .value_kind:     hidden_group_size_x
      - .offset:         54
        .size:           2
        .value_kind:     hidden_group_size_y
      - .offset:         56
        .size:           2
        .value_kind:     hidden_group_size_z
      - .offset:         58
        .size:           2
        .value_kind:     hidden_remainder_x
      - .offset:         60
        .size:           2
        .value_kind:     hidden_remainder_y
      - .offset:         62
        .size:           2
        .value_kind:     hidden_remainder_z
      - .offset:         80
        .size:           8
        .value_kind:     hidden_global_offset_x
      - .offset:         88
        .size:           8
        .value_kind:     hidden_global_offset_y
      - .offset:         96
        .size:           8
        .value_kind:     hidden_global_offset_z
      - .offset:         104
        .size:           2
        .value_kind:     hidden_grid_dims
    .group_segment_fixed_size: 32768
    .kernarg_segment_align: 8
    .kernarg_segment_size: 296
    .language:       OpenCL C
    .language_version:
      - 2
      - 0
    .max_flat_workgroup_size: 1024
    .name:           _ZN9rocsolver6v33100L11swap_kernelI19rocblas_complex_numIdEiEEvT0_PT_S4_S6_S4_
    .private_segment_fixed_size: 0
    .sgpr_count:     21
    .sgpr_spill_count: 0
    .symbol:         _ZN9rocsolver6v33100L11swap_kernelI19rocblas_complex_numIdEiEEvT0_PT_S4_S6_S4_.kd
    .uniform_work_group_size: 1
    .uses_dynamic_stack: false
    .vgpr_count:     20
    .vgpr_spill_count: 0
    .wavefront_size: 64
  - .agpr_count:     0
    .args:
      - .offset:         0
        .size:           4
        .value_kind:     by_value
      - .address_space:  global
        .offset:         8
        .size:           8
        .value_kind:     global_buffer
      - .offset:         16
        .size:           4
        .value_kind:     by_value
      - .address_space:  global
        .offset:         24
        .size:           8
        .value_kind:     global_buffer
      - .offset:         32
        .size:           4
        .value_kind:     by_value
      - .offset:         40
        .size:           8
        .value_kind:     by_value
      - .offset:         48
        .size:           8
        .value_kind:     by_value
      - .offset:         56
        .size:           4
        .value_kind:     hidden_block_count_x
      - .offset:         60
        .size:           4
        .value_kind:     hidden_block_count_y
      - .offset:         64
        .size:           4
        .value_kind:     hidden_block_count_z
      - .offset:         68
        .size:           2
        .value_kind:     hidden_group_size_x
      - .offset:         70
        .size:           2
        .value_kind:     hidden_group_size_y
      - .offset:         72
        .size:           2
        .value_kind:     hidden_group_size_z
      - .offset:         74
        .size:           2
        .value_kind:     hidden_remainder_x
      - .offset:         76
        .size:           2
        .value_kind:     hidden_remainder_y
      - .offset:         78
        .size:           2
        .value_kind:     hidden_remainder_z
      - .offset:         96
        .size:           8
        .value_kind:     hidden_global_offset_x
      - .offset:         104
        .size:           8
        .value_kind:     hidden_global_offset_y
      - .offset:         112
        .size:           8
        .value_kind:     hidden_global_offset_z
      - .offset:         120
        .size:           2
        .value_kind:     hidden_grid_dims
    .group_segment_fixed_size: 0
    .kernarg_segment_align: 8
    .kernarg_segment_size: 312
    .language:       OpenCL C
    .language_version:
      - 2
      - 0
    .max_flat_workgroup_size: 1024
    .name:           _ZN9rocsolver6v33100L10rot_kernelId19rocblas_complex_numIdEiEEvT1_PT0_S4_S6_S4_T_S7_
    .private_segment_fixed_size: 0
    .sgpr_count:     25
    .sgpr_spill_count: 0
    .symbol:         _ZN9rocsolver6v33100L10rot_kernelId19rocblas_complex_numIdEiEEvT1_PT0_S4_S6_S4_T_S7_.kd
    .uniform_work_group_size: 1
    .uses_dynamic_stack: false
    .vgpr_count:     26
    .vgpr_spill_count: 0
    .wavefront_size: 64
  - .agpr_count:     0
    .args:
      - .offset:         0
        .size:           4
        .value_kind:     by_value
      - .offset:         4
        .size:           4
        .value_kind:     by_value
      - .offset:         8
        .size:           4
        .value_kind:     by_value
      - .offset:         12
        .size:           4
        .value_kind:     by_value
      - .offset:         16
        .size:           4
        .value_kind:     by_value
      - .address_space:  global
        .offset:         24
        .size:           8
        .value_kind:     global_buffer
      - .offset:         32
        .size:           8
        .value_kind:     by_value
      - .address_space:  global
        .offset:         40
        .size:           8
        .value_kind:     global_buffer
      - .offset:         48
        .size:           8
        .value_kind:     by_value
      - .address_space:  global
        .offset:         56
        .size:           8
        .value_kind:     global_buffer
      - .offset:         64
        .size:           8
        .value_kind:     by_value
      - .offset:         72
        .size:           4
        .value_kind:     by_value
      - .offset:         80
        .size:           8
        .value_kind:     by_value
      - .offset:         88
        .size:           4
        .value_kind:     by_value
      - .offset:         96
        .size:           4
        .value_kind:     hidden_block_count_x
      - .offset:         100
        .size:           4
        .value_kind:     hidden_block_count_y
      - .offset:         104
        .size:           4
        .value_kind:     hidden_block_count_z
      - .offset:         108
        .size:           2
        .value_kind:     hidden_group_size_x
      - .offset:         110
        .size:           2
        .value_kind:     hidden_group_size_y
      - .offset:         112
        .size:           2
        .value_kind:     hidden_group_size_z
      - .offset:         114
        .size:           2
        .value_kind:     hidden_remainder_x
      - .offset:         116
        .size:           2
        .value_kind:     hidden_remainder_y
      - .offset:         118
        .size:           2
        .value_kind:     hidden_remainder_z
      - .offset:         136
        .size:           8
        .value_kind:     hidden_global_offset_x
      - .offset:         144
        .size:           8
        .value_kind:     hidden_global_offset_y
      - .offset:         152
        .size:           8
        .value_kind:     hidden_global_offset_z
      - .offset:         160
        .size:           2
        .value_kind:     hidden_grid_dims
    .group_segment_fixed_size: 0
    .kernarg_segment_align: 8
    .kernarg_segment_size: 352
    .language:       OpenCL C
    .language_version:
      - 2
      - 0
    .max_flat_workgroup_size: 64
    .name:           _ZN9rocsolver6v33100L11lasr_kernelI19rocblas_complex_numIdEdPS3_iEEv13rocblas_side_14rocblas_pivot_15rocblas_direct_T2_S8_PT0_lSA_lT1_lS8_lS8_
    .private_segment_fixed_size: 0
    .sgpr_count:     100
    .sgpr_spill_count: 10
    .symbol:         _ZN9rocsolver6v33100L11lasr_kernelI19rocblas_complex_numIdEdPS3_iEEv13rocblas_side_14rocblas_pivot_15rocblas_direct_T2_S8_PT0_lSA_lT1_lS8_lS8_.kd
    .uniform_work_group_size: 1
    .uses_dynamic_stack: false
    .vgpr_count:     60
    .vgpr_spill_count: 0
    .wavefront_size: 64
  - .agpr_count:     0
    .args:
      - .offset:         0
        .size:           4
        .value_kind:     by_value
      - .offset:         8
        .size:           8
        .value_kind:     by_value
      - .address_space:  global
        .offset:         16
        .size:           8
        .value_kind:     global_buffer
      - .offset:         24
        .size:           4
        .value_kind:     by_value
      - .offset:         32
        .size:           4
        .value_kind:     hidden_block_count_x
      - .offset:         36
        .size:           4
        .value_kind:     hidden_block_count_y
      - .offset:         40
        .size:           4
        .value_kind:     hidden_block_count_z
      - .offset:         44
        .size:           2
        .value_kind:     hidden_group_size_x
      - .offset:         46
        .size:           2
        .value_kind:     hidden_group_size_y
      - .offset:         48
        .size:           2
        .value_kind:     hidden_group_size_z
      - .offset:         50
        .size:           2
        .value_kind:     hidden_remainder_x
      - .offset:         52
        .size:           2
        .value_kind:     hidden_remainder_y
      - .offset:         54
        .size:           2
        .value_kind:     hidden_remainder_z
      - .offset:         72
        .size:           8
        .value_kind:     hidden_global_offset_x
      - .offset:         80
        .size:           8
        .value_kind:     hidden_global_offset_y
      - .offset:         88
        .size:           8
        .value_kind:     hidden_global_offset_z
      - .offset:         96
        .size:           2
        .value_kind:     hidden_grid_dims
    .group_segment_fixed_size: 0
    .kernarg_segment_align: 8
    .kernarg_segment_size: 288
    .language:       OpenCL C
    .language_version:
      - 2
      - 0
    .max_flat_workgroup_size: 1024
    .name:           _ZN9rocsolver6v33100L11scal_kernelId19rocblas_complex_numIdEiEEvT1_T_PT0_S4_
    .private_segment_fixed_size: 0
    .sgpr_count:     19
    .sgpr_spill_count: 0
    .symbol:         _ZN9rocsolver6v33100L11scal_kernelId19rocblas_complex_numIdEiEEvT1_T_PT0_S4_.kd
    .uniform_work_group_size: 1
    .uses_dynamic_stack: false
    .vgpr_count:     10
    .vgpr_spill_count: 0
    .wavefront_size: 64
  - .agpr_count:     0
    .args:
      - .offset:         0
        .size:           4
        .value_kind:     by_value
      - .offset:         4
        .size:           4
        .value_kind:     by_value
      - .offset:         8
        .size:           4
        .value_kind:     by_value
      - .address_space:  global
        .offset:         16
        .size:           8
        .value_kind:     global_buffer
      - .offset:         24
        .size:           8
        .value_kind:     by_value
      - .address_space:  global
        .offset:         32
        .size:           8
        .value_kind:     global_buffer
      - .offset:         40
        .size:           8
        .value_kind:     by_value
      - .address_space:  global
        .offset:         48
        .size:           8
        .value_kind:     global_buffer
      - .offset:         56
        .size:           4
        .value_kind:     by_value
      - .offset:         60
        .size:           4
        .value_kind:     by_value
      - .offset:         64
        .size:           8
        .value_kind:     by_value
      - .address_space:  global
        .offset:         72
        .size:           8
        .value_kind:     global_buffer
      - .offset:         80
        .size:           4
        .value_kind:     by_value
      - .offset:         84
        .size:           4
        .value_kind:     by_value
      - .offset:         88
        .size:           8
        .value_kind:     by_value
      - .address_space:  global
        .offset:         96
        .size:           8
        .value_kind:     global_buffer
      - .address_space:  global
        .offset:         104
        .size:           8
        .value_kind:     global_buffer
      - .offset:         112
        .size:           8
        .value_kind:     by_value
      - .address_space:  global
        .offset:         120
        .size:           8
        .value_kind:     global_buffer
      - .offset:         128
        .size:           4
        .value_kind:     hidden_block_count_x
      - .offset:         132
        .size:           4
        .value_kind:     hidden_block_count_y
      - .offset:         136
        .size:           4
        .value_kind:     hidden_block_count_z
      - .offset:         140
        .size:           2
        .value_kind:     hidden_group_size_x
      - .offset:         142
        .size:           2
        .value_kind:     hidden_group_size_y
      - .offset:         144
        .size:           2
        .value_kind:     hidden_group_size_z
      - .offset:         146
        .size:           2
        .value_kind:     hidden_remainder_x
      - .offset:         148
        .size:           2
        .value_kind:     hidden_remainder_y
      - .offset:         150
        .size:           2
        .value_kind:     hidden_remainder_z
      - .offset:         168
        .size:           8
        .value_kind:     hidden_global_offset_x
      - .offset:         176
        .size:           8
        .value_kind:     hidden_global_offset_y
      - .offset:         184
        .size:           8
        .value_kind:     hidden_global_offset_z
      - .offset:         192
        .size:           2
        .value_kind:     hidden_grid_dims
    .group_segment_fixed_size: 0
    .kernarg_segment_align: 8
    .kernarg_segment_size: 384
    .language:       OpenCL C
    .language_version:
      - 2
      - 0
    .max_flat_workgroup_size: 1024
    .name:           _ZN9rocsolver6v33100L17bdsqr_lower2upperI19rocblas_complex_numIdEdPS3_S4_EEviiiPT0_lS6_lT1_iilT2_iilPiS6_lS9_
    .private_segment_fixed_size: 0
    .sgpr_count:     42
    .sgpr_spill_count: 0
    .symbol:         _ZN9rocsolver6v33100L17bdsqr_lower2upperI19rocblas_complex_numIdEdPS3_S4_EEviiiPT0_lS6_lT1_iilT2_iilPiS6_lS9_.kd
    .uniform_work_group_size: 1
    .uses_dynamic_stack: false
    .vgpr_count:     28
    .vgpr_spill_count: 0
    .wavefront_size: 64
  - .agpr_count:     0
    .args:
      - .offset:         0
        .size:           4
        .value_kind:     by_value
      - .offset:         4
        .size:           4
        .value_kind:     by_value
      - .offset:         8
        .size:           4
        .value_kind:     by_value
      - .offset:         12
        .size:           4
        .value_kind:     by_value
      - .address_space:  global
        .offset:         16
        .size:           8
        .value_kind:     global_buffer
      - .offset:         24
        .size:           8
        .value_kind:     by_value
      - .address_space:  global
        .offset:         32
        .size:           8
        .value_kind:     global_buffer
      - .offset:         40
        .size:           8
        .value_kind:     by_value
      - .address_space:  global
        .offset:         48
        .size:           8
        .value_kind:     global_buffer
      - .offset:         56
        .size:           4
        .value_kind:     by_value
      - .offset:         60
        .size:           4
        .value_kind:     by_value
      - .offset:         64
        .size:           8
        .value_kind:     by_value
      - .address_space:  global
        .offset:         72
        .size:           8
        .value_kind:     global_buffer
      - .offset:         80
        .size:           4
        .value_kind:     by_value
      - .offset:         84
        .size:           4
        .value_kind:     by_value
      - .offset:         88
        .size:           8
        .value_kind:     by_value
      - .address_space:  global
        .offset:         96
        .size:           8
        .value_kind:     global_buffer
      - .offset:         104
        .size:           4
        .value_kind:     by_value
      - .offset:         108
        .size:           4
        .value_kind:     by_value
      - .offset:         112
        .size:           8
        .value_kind:     by_value
      - .offset:         120
        .size:           4
        .value_kind:     by_value
      - .offset:         128
        .size:           8
        .value_kind:     by_value
      - .offset:         136
        .size:           8
        .value_kind:     by_value
      - .offset:         144
        .size:           8
        .value_kind:     by_value
      - .offset:         152
        .size:           8
        .value_kind:     by_value
      - .address_space:  global
        .offset:         160
        .size:           8
        .value_kind:     global_buffer
      - .address_space:  global
        .offset:         168
        .size:           8
        .value_kind:     global_buffer
      - .offset:         176
        .size:           4
        .value_kind:     by_value
      - .offset:         184
        .size:           8
        .value_kind:     by_value
      - .address_space:  global
        .offset:         192
        .size:           8
        .value_kind:     global_buffer
      - .offset:         200
        .size:           4
        .value_kind:     hidden_block_count_x
      - .offset:         204
        .size:           4
        .value_kind:     hidden_block_count_y
      - .offset:         208
        .size:           4
        .value_kind:     hidden_block_count_z
      - .offset:         212
        .size:           2
        .value_kind:     hidden_group_size_x
      - .offset:         214
        .size:           2
        .value_kind:     hidden_group_size_y
      - .offset:         216
        .size:           2
        .value_kind:     hidden_group_size_z
      - .offset:         218
        .size:           2
        .value_kind:     hidden_remainder_x
      - .offset:         220
        .size:           2
        .value_kind:     hidden_remainder_y
      - .offset:         222
        .size:           2
        .value_kind:     hidden_remainder_z
      - .offset:         240
        .size:           8
        .value_kind:     hidden_global_offset_x
      - .offset:         248
        .size:           8
        .value_kind:     hidden_global_offset_y
      - .offset:         256
        .size:           8
        .value_kind:     hidden_global_offset_z
      - .offset:         264
        .size:           2
        .value_kind:     hidden_grid_dims
    .group_segment_fixed_size: 2072
    .kernarg_segment_align: 8
    .kernarg_segment_size: 456
    .language:       OpenCL C
    .language_version:
      - 2
      - 0
    .max_flat_workgroup_size: 1024
    .name:           _ZN9rocsolver6v33100L13bdsqr_computeILi256E19rocblas_complex_numIdEdPS3_S4_S4_EEviiiiPT1_lS6_lT2_iilT3_iilT4_iiliS5_S5_S5_S5_PiS6_ilSA_
    .private_segment_fixed_size: 0
    .sgpr_count:     100
    .sgpr_spill_count: 31
    .symbol:         _ZN9rocsolver6v33100L13bdsqr_computeILi256E19rocblas_complex_numIdEdPS3_S4_S4_EEviiiiPT1_lS6_lT2_iilT3_iilT4_iiliS5_S5_S5_S5_PiS6_ilSA_.kd
    .uniform_work_group_size: 1
    .uses_dynamic_stack: false
    .vgpr_count:     45
    .vgpr_spill_count: 0
    .wavefront_size: 64
  - .agpr_count:     0
    .args:
      - .offset:         0
        .size:           4
        .value_kind:     by_value
      - .offset:         4
        .size:           4
        .value_kind:     by_value
      - .offset:         8
        .size:           4
        .value_kind:     by_value
      - .offset:         12
        .size:           4
        .value_kind:     by_value
      - .address_space:  global
        .offset:         16
        .size:           8
        .value_kind:     global_buffer
      - .offset:         24
        .size:           4
        .value_kind:     by_value
      - .offset:         28
        .size:           4
        .value_kind:     by_value
      - .offset:         32
        .size:           8
        .value_kind:     by_value
      - .address_space:  global
        .offset:         40
        .size:           8
        .value_kind:     global_buffer
      - .offset:         48
        .size:           4
        .value_kind:     by_value
      - .offset:         52
        .size:           4
        .value_kind:     by_value
      - .offset:         56
        .size:           8
        .value_kind:     by_value
      - .address_space:  global
        .offset:         64
        .size:           8
        .value_kind:     global_buffer
      - .offset:         72
        .size:           4
        .value_kind:     by_value
      - .offset:         76
        .size:           4
        .value_kind:     by_value
      - .offset:         80
        .size:           8
        .value_kind:     by_value
      - .offset:         88
        .size:           4
        .value_kind:     by_value
      - .address_space:  global
        .offset:         96
        .size:           8
        .value_kind:     global_buffer
      - .address_space:  global
        .offset:         104
        .size:           8
        .value_kind:     global_buffer
      - .offset:         112
        .size:           4
        .value_kind:     by_value
      - .offset:         120
        .size:           8
        .value_kind:     by_value
      - .address_space:  global
        .offset:         128
        .size:           8
        .value_kind:     global_buffer
      - .offset:         136
        .size:           4
        .value_kind:     hidden_block_count_x
      - .offset:         140
        .size:           4
        .value_kind:     hidden_block_count_y
      - .offset:         144
        .size:           4
        .value_kind:     hidden_block_count_z
      - .offset:         148
        .size:           2
        .value_kind:     hidden_group_size_x
      - .offset:         150
        .size:           2
        .value_kind:     hidden_group_size_y
      - .offset:         152
        .size:           2
        .value_kind:     hidden_group_size_z
      - .offset:         154
        .size:           2
        .value_kind:     hidden_remainder_x
      - .offset:         156
        .size:           2
        .value_kind:     hidden_remainder_y
      - .offset:         158
        .size:           2
        .value_kind:     hidden_remainder_z
      - .offset:         176
        .size:           8
        .value_kind:     hidden_global_offset_x
      - .offset:         184
        .size:           8
        .value_kind:     hidden_global_offset_y
      - .offset:         192
        .size:           8
        .value_kind:     hidden_global_offset_z
      - .offset:         200
        .size:           2
        .value_kind:     hidden_grid_dims
    .group_segment_fixed_size: 0
    .kernarg_segment_align: 8
    .kernarg_segment_size: 392
    .language:       OpenCL C
    .language_version:
      - 2
      - 0
    .max_flat_workgroup_size: 1024
    .name:           _ZN9rocsolver6v33100L12bdsqr_rotateI19rocblas_complex_numIdEdPS3_S4_S4_EEviiiiT1_iilT2_iilT3_iiliPiPT0_ilS8_
    .private_segment_fixed_size: 0
    .sgpr_count:     52
    .sgpr_spill_count: 0
    .symbol:         _ZN9rocsolver6v33100L12bdsqr_rotateI19rocblas_complex_numIdEdPS3_S4_S4_EEviiiiT1_iilT2_iilT3_iiliPiPT0_ilS8_.kd
    .uniform_work_group_size: 1
    .uses_dynamic_stack: false
    .vgpr_count:     28
    .vgpr_spill_count: 0
    .wavefront_size: 64
  - .agpr_count:     0
    .args:
      - .offset:         0
        .size:           4
        .value_kind:     by_value
      - .address_space:  global
        .offset:         8
        .size:           8
        .value_kind:     global_buffer
      - .offset:         16
        .size:           8
        .value_kind:     by_value
      - .address_space:  global
        .offset:         24
        .size:           8
        .value_kind:     global_buffer
      - .address_space:  global
        .offset:         32
        .size:           8
        .value_kind:     global_buffer
      - .offset:         40
        .size:           8
        .value_kind:     by_value
      - .address_space:  global
        .offset:         48
        .size:           8
        .value_kind:     global_buffer
      - .offset:         56
        .size:           4
        .value_kind:     hidden_block_count_x
      - .offset:         60
        .size:           4
        .value_kind:     hidden_block_count_y
      - .offset:         64
        .size:           4
        .value_kind:     hidden_block_count_z
      - .offset:         68
        .size:           2
        .value_kind:     hidden_group_size_x
      - .offset:         70
        .size:           2
        .value_kind:     hidden_group_size_y
      - .offset:         72
        .size:           2
        .value_kind:     hidden_group_size_z
      - .offset:         74
        .size:           2
        .value_kind:     hidden_remainder_x
      - .offset:         76
        .size:           2
        .value_kind:     hidden_remainder_y
      - .offset:         78
        .size:           2
        .value_kind:     hidden_remainder_z
      - .offset:         96
        .size:           8
        .value_kind:     hidden_global_offset_x
      - .offset:         104
        .size:           8
        .value_kind:     hidden_global_offset_y
      - .offset:         112
        .size:           8
        .value_kind:     hidden_global_offset_z
      - .offset:         120
        .size:           2
        .value_kind:     hidden_grid_dims
    .group_segment_fixed_size: 0
    .kernarg_segment_align: 8
    .kernarg_segment_size: 312
    .language:       OpenCL C
    .language_version:
      - 2
      - 0
    .max_flat_workgroup_size: 1024
    .name:           _ZN9rocsolver6v33100L22bdsqr_update_endpointsI19rocblas_complex_numIdEdEEviPT0_lPiS5_lS6_
    .private_segment_fixed_size: 0
    .sgpr_count:     30
    .sgpr_spill_count: 0
    .symbol:         _ZN9rocsolver6v33100L22bdsqr_update_endpointsI19rocblas_complex_numIdEdEEviPT0_lPiS5_lS6_.kd
    .uniform_work_group_size: 1
    .uses_dynamic_stack: false
    .vgpr_count:     16
    .vgpr_spill_count: 0
    .wavefront_size: 64
  - .agpr_count:     0
    .args:
      - .offset:         0
        .size:           4
        .value_kind:     by_value
      - .offset:         4
        .size:           4
        .value_kind:     by_value
      - .address_space:  global
        .offset:         8
        .size:           8
        .value_kind:     global_buffer
      - .address_space:  global
        .offset:         16
        .size:           8
        .value_kind:     global_buffer
      - .offset:         24
        .size:           8
        .value_kind:     by_value
      - .address_space:  global
        .offset:         32
        .size:           8
        .value_kind:     global_buffer
    .group_segment_fixed_size: 0
    .kernarg_segment_align: 8
    .kernarg_segment_size: 40
    .language:       OpenCL C
    .language_version:
      - 2
      - 0
    .max_flat_workgroup_size: 1024
    .name:           _ZN9rocsolver6v33100L19bdsqr_chk_completedI19rocblas_complex_numIdEdEEviiPiPT0_lS4_
    .private_segment_fixed_size: 0
    .sgpr_count:     24
    .sgpr_spill_count: 0
    .symbol:         _ZN9rocsolver6v33100L19bdsqr_chk_completedI19rocblas_complex_numIdEdEEviiPiPT0_lS4_.kd
    .uniform_work_group_size: 1
    .uses_dynamic_stack: false
    .vgpr_count:     6
    .vgpr_spill_count: 0
    .wavefront_size: 64
  - .agpr_count:     0
    .args:
      - .offset:         0
        .size:           4
        .value_kind:     by_value
      - .offset:         4
        .size:           4
        .value_kind:     by_value
      - .offset:         8
        .size:           4
        .value_kind:     by_value
      - .offset:         12
        .size:           4
        .value_kind:     by_value
      - .address_space:  global
        .offset:         16
        .size:           8
        .value_kind:     global_buffer
      - .offset:         24
        .size:           8
        .value_kind:     by_value
      - .address_space:  global
        .offset:         32
        .size:           8
        .value_kind:     global_buffer
      - .offset:         40
        .size:           8
        .value_kind:     by_value
      - .address_space:  global
        .offset:         48
        .size:           8
        .value_kind:     global_buffer
      - .offset:         56
        .size:           4
        .value_kind:     by_value
      - .offset:         60
        .size:           4
        .value_kind:     by_value
      - .offset:         64
        .size:           8
        .value_kind:     by_value
      - .address_space:  global
        .offset:         72
        .size:           8
        .value_kind:     global_buffer
      - .offset:         80
        .size:           4
        .value_kind:     by_value
      - .offset:         84
        .size:           4
        .value_kind:     by_value
      - .offset:         88
        .size:           8
        .value_kind:     by_value
      - .address_space:  global
        .offset:         96
        .size:           8
        .value_kind:     global_buffer
      - .offset:         104
        .size:           4
        .value_kind:     by_value
      - .offset:         108
        .size:           4
        .value_kind:     by_value
      - .offset:         112
        .size:           8
        .value_kind:     by_value
      - .address_space:  global
        .offset:         120
        .size:           8
        .value_kind:     global_buffer
      - .address_space:  global
        .offset:         128
        .size:           8
        .value_kind:     global_buffer
      - .address_space:  global
        .offset:         136
        .size:           8
        .value_kind:     global_buffer
      - .offset:         144
        .size:           4
        .value_kind:     hidden_block_count_x
      - .offset:         148
        .size:           4
        .value_kind:     hidden_block_count_y
      - .offset:         152
        .size:           4
        .value_kind:     hidden_block_count_z
      - .offset:         156
        .size:           2
        .value_kind:     hidden_group_size_x
      - .offset:         158
        .size:           2
        .value_kind:     hidden_group_size_y
      - .offset:         160
        .size:           2
        .value_kind:     hidden_group_size_z
      - .offset:         162
        .size:           2
        .value_kind:     hidden_remainder_x
      - .offset:         164
        .size:           2
        .value_kind:     hidden_remainder_y
      - .offset:         166
        .size:           2
        .value_kind:     hidden_remainder_z
      - .offset:         184
        .size:           8
        .value_kind:     hidden_global_offset_x
      - .offset:         192
        .size:           8
        .value_kind:     hidden_global_offset_y
      - .offset:         200
        .size:           8
        .value_kind:     hidden_global_offset_z
      - .offset:         208
        .size:           2
        .value_kind:     hidden_grid_dims
      - .offset:         224
        .size:           8
        .value_kind:     hidden_hostcall_buffer
    .group_segment_fixed_size: 32768
    .kernarg_segment_align: 8
    .kernarg_segment_size: 400
    .language:       OpenCL C
    .language_version:
      - 2
      - 0
    .max_flat_workgroup_size: 1024
    .name:           _ZN9rocsolver6v33100L14bdsqr_finalizeI19rocblas_complex_numIdEdPS3_S4_S4_EEviiiiPT0_lS6_lT1_iilT2_iilT3_iilPiSA_SA_
    .private_segment_fixed_size: 144
    .sgpr_count:     84
    .sgpr_spill_count: 0
    .symbol:         _ZN9rocsolver6v33100L14bdsqr_finalizeI19rocblas_complex_numIdEdPS3_S4_S4_EEviiiiPT0_lS6_lT1_iilT2_iilT3_iilPiSA_SA_.kd
    .uniform_work_group_size: 1
    .uses_dynamic_stack: false
    .vgpr_count:     45
    .vgpr_spill_count: 0
    .wavefront_size: 64
amdhsa.target:   amdgcn-amd-amdhsa--gfx90a
amdhsa.version:
  - 1
  - 2
...

	.end_amdgpu_metadata
